;; amdgpu-corpus repo=zjin-lcf/HeCBench kind=compiled arch=gfx1030 opt=O3
	.amdgcn_target "amdgcn-amd-amdhsa--gfx1030"
	.amdhsa_code_object_version 6
	.section	.text._Z4fillILb1EfEviPT0_S0_,"axG",@progbits,_Z4fillILb1EfEviPT0_S0_,comdat
	.protected	_Z4fillILb1EfEviPT0_S0_ ; -- Begin function _Z4fillILb1EfEviPT0_S0_
	.globl	_Z4fillILb1EfEviPT0_S0_
	.p2align	8
	.type	_Z4fillILb1EfEviPT0_S0_,@function
_Z4fillILb1EfEviPT0_S0_:                ; @_Z4fillILb1EfEviPT0_S0_
; %bb.0:
	s_clause 0x1
	s_load_dword s2, s[4:5], 0x24
	s_load_dword s7, s[4:5], 0x0
	s_add_u32 s0, s4, 24
	s_addc_u32 s1, s5, 0
	s_waitcnt lgkmcnt(0)
	s_and_b32 s8, s2, 0xffff
	s_mov_b32 s2, exec_lo
	v_mad_u64_u32 v[0:1], null, s6, s8, v[0:1]
	v_cmpx_gt_i32_e64 s7, v0
	s_cbranch_execz .LBB0_3
; %bb.1:
	s_load_dword s1, s[0:1], 0x0
	s_load_dwordx2 s[2:3], s[4:5], 0x8
	v_cvt_f32_i32_e32 v2, s7
	s_mov_b32 s4, 0
	s_waitcnt lgkmcnt(0)
	s_mul_i32 s1, s1, s8
	s_inst_prefetch 0x1
	.p2align	6
.LBB0_2:                                ; =>This Inner Loop Header: Depth=1
	v_add_nc_u32_e32 v1, 1, v0
	v_cvt_f32_i32_e32 v5, v1
	v_ashrrev_i32_e32 v1, 31, v0
	v_div_scale_f32 v6, null, v2, v2, v5
	v_lshlrev_b64 v[3:4], 2, v[0:1]
	v_div_scale_f32 v1, vcc_lo, v5, v2, v5
	v_rcp_f32_e32 v7, v6
	v_add_nc_u32_e32 v0, s1, v0
	v_cmp_le_i32_e64 s0, s7, v0
	v_fma_f32 v8, -v6, v7, 1.0
	s_or_b32 s4, s0, s4
	v_fmac_f32_e32 v7, v8, v7
	v_mul_f32_e32 v8, v1, v7
	v_fma_f32 v9, -v6, v8, v1
	v_fmac_f32_e32 v8, v9, v7
	v_fma_f32 v1, -v6, v8, v1
	v_div_fmas_f32 v1, v1, v7, v8
	v_add_co_u32 v3, vcc_lo, s2, v3
	v_add_co_ci_u32_e64 v4, null, s3, v4, vcc_lo
	v_div_fixup_f32 v1, v1, v2, v5
	global_store_dword v[3:4], v1, off
	s_andn2_b32 exec_lo, exec_lo, s4
	s_cbranch_execnz .LBB0_2
.LBB0_3:
	s_inst_prefetch 0x2
	s_endpgm
	.section	.rodata,"a",@progbits
	.p2align	6, 0x0
	.amdhsa_kernel _Z4fillILb1EfEviPT0_S0_
		.amdhsa_group_segment_fixed_size 0
		.amdhsa_private_segment_fixed_size 0
		.amdhsa_kernarg_size 280
		.amdhsa_user_sgpr_count 6
		.amdhsa_user_sgpr_private_segment_buffer 1
		.amdhsa_user_sgpr_dispatch_ptr 0
		.amdhsa_user_sgpr_queue_ptr 0
		.amdhsa_user_sgpr_kernarg_segment_ptr 1
		.amdhsa_user_sgpr_dispatch_id 0
		.amdhsa_user_sgpr_flat_scratch_init 0
		.amdhsa_user_sgpr_private_segment_size 0
		.amdhsa_wavefront_size32 1
		.amdhsa_uses_dynamic_stack 0
		.amdhsa_system_sgpr_private_segment_wavefront_offset 0
		.amdhsa_system_sgpr_workgroup_id_x 1
		.amdhsa_system_sgpr_workgroup_id_y 0
		.amdhsa_system_sgpr_workgroup_id_z 0
		.amdhsa_system_sgpr_workgroup_info 0
		.amdhsa_system_vgpr_workitem_id 0
		.amdhsa_next_free_vgpr 10
		.amdhsa_next_free_sgpr 9
		.amdhsa_reserve_vcc 1
		.amdhsa_reserve_flat_scratch 0
		.amdhsa_float_round_mode_32 0
		.amdhsa_float_round_mode_16_64 0
		.amdhsa_float_denorm_mode_32 3
		.amdhsa_float_denorm_mode_16_64 3
		.amdhsa_dx10_clamp 1
		.amdhsa_ieee_mode 1
		.amdhsa_fp16_overflow 0
		.amdhsa_workgroup_processor_mode 1
		.amdhsa_memory_ordered 1
		.amdhsa_forward_progress 1
		.amdhsa_shared_vgpr_count 0
		.amdhsa_exception_fp_ieee_invalid_op 0
		.amdhsa_exception_fp_denorm_src 0
		.amdhsa_exception_fp_ieee_div_zero 0
		.amdhsa_exception_fp_ieee_overflow 0
		.amdhsa_exception_fp_ieee_underflow 0
		.amdhsa_exception_fp_ieee_inexact 0
		.amdhsa_exception_int_div_zero 0
	.end_amdhsa_kernel
	.section	.text._Z4fillILb1EfEviPT0_S0_,"axG",@progbits,_Z4fillILb1EfEviPT0_S0_,comdat
.Lfunc_end0:
	.size	_Z4fillILb1EfEviPT0_S0_, .Lfunc_end0-_Z4fillILb1EfEviPT0_S0_
                                        ; -- End function
	.set _Z4fillILb1EfEviPT0_S0_.num_vgpr, 10
	.set _Z4fillILb1EfEviPT0_S0_.num_agpr, 0
	.set _Z4fillILb1EfEviPT0_S0_.numbered_sgpr, 9
	.set _Z4fillILb1EfEviPT0_S0_.num_named_barrier, 0
	.set _Z4fillILb1EfEviPT0_S0_.private_seg_size, 0
	.set _Z4fillILb1EfEviPT0_S0_.uses_vcc, 1
	.set _Z4fillILb1EfEviPT0_S0_.uses_flat_scratch, 0
	.set _Z4fillILb1EfEviPT0_S0_.has_dyn_sized_stack, 0
	.set _Z4fillILb1EfEviPT0_S0_.has_recursion, 0
	.set _Z4fillILb1EfEviPT0_S0_.has_indirect_call, 0
	.section	.AMDGPU.csdata,"",@progbits
; Kernel info:
; codeLenInByte = 276
; TotalNumSgprs: 11
; NumVgprs: 10
; ScratchSize: 0
; MemoryBound: 0
; FloatMode: 240
; IeeeMode: 1
; LDSByteSize: 0 bytes/workgroup (compile time only)
; SGPRBlocks: 0
; VGPRBlocks: 1
; NumSGPRsForWavesPerEU: 11
; NumVGPRsForWavesPerEU: 10
; Occupancy: 16
; WaveLimiterHint : 0
; COMPUTE_PGM_RSRC2:SCRATCH_EN: 0
; COMPUTE_PGM_RSRC2:USER_SGPR: 6
; COMPUTE_PGM_RSRC2:TRAP_HANDLER: 0
; COMPUTE_PGM_RSRC2:TGID_X_EN: 1
; COMPUTE_PGM_RSRC2:TGID_Y_EN: 0
; COMPUTE_PGM_RSRC2:TGID_Z_EN: 0
; COMPUTE_PGM_RSRC2:TIDIG_COMP_CNT: 0
	.section	.text._Z4fillILb0EfEviPT0_S0_,"axG",@progbits,_Z4fillILb0EfEviPT0_S0_,comdat
	.protected	_Z4fillILb0EfEviPT0_S0_ ; -- Begin function _Z4fillILb0EfEviPT0_S0_
	.globl	_Z4fillILb0EfEviPT0_S0_
	.p2align	8
	.type	_Z4fillILb0EfEviPT0_S0_,@function
_Z4fillILb0EfEviPT0_S0_:                ; @_Z4fillILb0EfEviPT0_S0_
; %bb.0:
	s_clause 0x1
	s_load_dword s2, s[4:5], 0x24
	s_load_dword s7, s[4:5], 0x0
	s_add_u32 s0, s4, 24
	s_addc_u32 s1, s5, 0
	s_waitcnt lgkmcnt(0)
	s_and_b32 s8, s2, 0xffff
	s_mov_b32 s2, exec_lo
	v_mad_u64_u32 v[0:1], null, s6, s8, v[0:1]
	v_cmpx_gt_i32_e64 s7, v0
	s_cbranch_execz .LBB1_3
; %bb.1:
	s_load_dword s6, s[4:5], 0x10
	s_load_dword s1, s[0:1], 0x0
	s_load_dwordx2 s[2:3], s[4:5], 0x8
	s_mov_b32 s4, 0
	s_waitcnt lgkmcnt(0)
	v_mov_b32_e32 v2, s6
	s_mul_i32 s1, s1, s8
.LBB1_2:                                ; =>This Inner Loop Header: Depth=1
	v_ashrrev_i32_e32 v1, 31, v0
	v_lshlrev_b64 v[3:4], 2, v[0:1]
	v_add_nc_u32_e32 v0, s1, v0
	v_cmp_le_i32_e32 vcc_lo, s7, v0
	v_add_co_u32 v3, s0, s2, v3
	v_add_co_ci_u32_e64 v4, null, s3, v4, s0
	s_or_b32 s4, vcc_lo, s4
	global_store_dword v[3:4], v2, off
	s_andn2_b32 exec_lo, exec_lo, s4
	s_cbranch_execnz .LBB1_2
.LBB1_3:
	s_endpgm
	.section	.rodata,"a",@progbits
	.p2align	6, 0x0
	.amdhsa_kernel _Z4fillILb0EfEviPT0_S0_
		.amdhsa_group_segment_fixed_size 0
		.amdhsa_private_segment_fixed_size 0
		.amdhsa_kernarg_size 280
		.amdhsa_user_sgpr_count 6
		.amdhsa_user_sgpr_private_segment_buffer 1
		.amdhsa_user_sgpr_dispatch_ptr 0
		.amdhsa_user_sgpr_queue_ptr 0
		.amdhsa_user_sgpr_kernarg_segment_ptr 1
		.amdhsa_user_sgpr_dispatch_id 0
		.amdhsa_user_sgpr_flat_scratch_init 0
		.amdhsa_user_sgpr_private_segment_size 0
		.amdhsa_wavefront_size32 1
		.amdhsa_uses_dynamic_stack 0
		.amdhsa_system_sgpr_private_segment_wavefront_offset 0
		.amdhsa_system_sgpr_workgroup_id_x 1
		.amdhsa_system_sgpr_workgroup_id_y 0
		.amdhsa_system_sgpr_workgroup_id_z 0
		.amdhsa_system_sgpr_workgroup_info 0
		.amdhsa_system_vgpr_workitem_id 0
		.amdhsa_next_free_vgpr 5
		.amdhsa_next_free_sgpr 9
		.amdhsa_reserve_vcc 1
		.amdhsa_reserve_flat_scratch 0
		.amdhsa_float_round_mode_32 0
		.amdhsa_float_round_mode_16_64 0
		.amdhsa_float_denorm_mode_32 3
		.amdhsa_float_denorm_mode_16_64 3
		.amdhsa_dx10_clamp 1
		.amdhsa_ieee_mode 1
		.amdhsa_fp16_overflow 0
		.amdhsa_workgroup_processor_mode 1
		.amdhsa_memory_ordered 1
		.amdhsa_forward_progress 1
		.amdhsa_shared_vgpr_count 0
		.amdhsa_exception_fp_ieee_invalid_op 0
		.amdhsa_exception_fp_denorm_src 0
		.amdhsa_exception_fp_ieee_div_zero 0
		.amdhsa_exception_fp_ieee_overflow 0
		.amdhsa_exception_fp_ieee_underflow 0
		.amdhsa_exception_fp_ieee_inexact 0
		.amdhsa_exception_int_div_zero 0
	.end_amdhsa_kernel
	.section	.text._Z4fillILb0EfEviPT0_S0_,"axG",@progbits,_Z4fillILb0EfEviPT0_S0_,comdat
.Lfunc_end1:
	.size	_Z4fillILb0EfEviPT0_S0_, .Lfunc_end1-_Z4fillILb0EfEviPT0_S0_
                                        ; -- End function
	.set _Z4fillILb0EfEviPT0_S0_.num_vgpr, 5
	.set _Z4fillILb0EfEviPT0_S0_.num_agpr, 0
	.set _Z4fillILb0EfEviPT0_S0_.numbered_sgpr, 9
	.set _Z4fillILb0EfEviPT0_S0_.num_named_barrier, 0
	.set _Z4fillILb0EfEviPT0_S0_.private_seg_size, 0
	.set _Z4fillILb0EfEviPT0_S0_.uses_vcc, 1
	.set _Z4fillILb0EfEviPT0_S0_.uses_flat_scratch, 0
	.set _Z4fillILb0EfEviPT0_S0_.has_dyn_sized_stack, 0
	.set _Z4fillILb0EfEviPT0_S0_.has_recursion, 0
	.set _Z4fillILb0EfEviPT0_S0_.has_indirect_call, 0
	.section	.AMDGPU.csdata,"",@progbits
; Kernel info:
; codeLenInByte = 164
; TotalNumSgprs: 11
; NumVgprs: 5
; ScratchSize: 0
; MemoryBound: 0
; FloatMode: 240
; IeeeMode: 1
; LDSByteSize: 0 bytes/workgroup (compile time only)
; SGPRBlocks: 0
; VGPRBlocks: 0
; NumSGPRsForWavesPerEU: 11
; NumVGPRsForWavesPerEU: 5
; Occupancy: 16
; WaveLimiterHint : 0
; COMPUTE_PGM_RSRC2:SCRATCH_EN: 0
; COMPUTE_PGM_RSRC2:USER_SGPR: 6
; COMPUTE_PGM_RSRC2:TRAP_HANDLER: 0
; COMPUTE_PGM_RSRC2:TGID_X_EN: 1
; COMPUTE_PGM_RSRC2:TGID_Y_EN: 0
; COMPUTE_PGM_RSRC2:TGID_Z_EN: 0
; COMPUTE_PGM_RSRC2:TIDIG_COMP_CNT: 0
	.section	.text._Z15jaccard_row_sumILb1EfEviPKiS1_PKT0_PS2_,"axG",@progbits,_Z15jaccard_row_sumILb1EfEviPKiS1_PKT0_PS2_,comdat
	.protected	_Z15jaccard_row_sumILb1EfEviPKiS1_PKT0_PS2_ ; -- Begin function _Z15jaccard_row_sumILb1EfEviPKiS1_PKT0_PS2_
	.globl	_Z15jaccard_row_sumILb1EfEviPKiS1_PKT0_PS2_
	.p2align	8
	.type	_Z15jaccard_row_sumILb1EfEviPKiS1_PKT0_PS2_,@function
_Z15jaccard_row_sumILb1EfEviPKiS1_PKT0_PS2_: ; @_Z15jaccard_row_sumILb1EfEviPKiS1_PKT0_PS2_
; %bb.0:
	s_clause 0x1
	s_load_dword s3, s[4:5], 0x34
	s_load_dword s2, s[4:5], 0x0
	s_add_u32 s0, s4, 40
	s_addc_u32 s1, s5, 0
	s_waitcnt lgkmcnt(0)
	s_lshr_b32 s14, s3, 16
	s_mov_b32 s3, exec_lo
	v_mad_u64_u32 v[1:2], null, s7, s14, v[1:2]
	v_cmpx_gt_i32_e64 s2, v1
	s_cbranch_execz .LBB2_14
; %bb.1:
	s_clause 0x1
	s_load_dword s3, s[0:1], 0xc
	s_load_dword s15, s[0:1], 0x4
	s_load_dwordx8 s[4:11], s[4:5], 0x8
	v_mbcnt_lo_u32_b32 v6, -1, 0
	v_cmp_eq_u32_e64 s0, 0, v0
	s_mov_b32 s13, 0
	s_waitcnt lgkmcnt(0)
	s_mul_i32 s14, s15, s14
	s_and_b32 s3, s3, 0xffff
	v_cvt_f32_u32_e32 v2, s3
	s_sub_i32 s12, 0, s3
	s_add_i32 s1, s3, -1
	v_and_b32_e32 v7, s12, v6
	s_cmp_gt_u32 s3, 1
	v_rcp_iflag_f32_e32 v2, v2
	v_add_lshl_u32 v8, s1, v7, 2
	v_mul_f32_e32 v2, 0x4f7ffffe, v2
	v_cvt_u32_f32_e32 v2, v2
	v_mul_lo_u32 v3, s12, v2
	s_cselect_b32 s12, -1, 0
	v_mul_hi_u32 v3, v2, v3
	v_add_nc_u32_e32 v9, v2, v3
	s_branch .LBB2_3
.LBB2_2:                                ;   in Loop: Header=BB2_3 Depth=1
	s_or_b32 exec_lo, exec_lo, s15
	v_add_nc_u32_e32 v1, s14, v1
	v_cmp_le_i32_e32 vcc_lo, s2, v1
	s_or_b32 s13, vcc_lo, s13
	s_andn2_b32 exec_lo, exec_lo, s13
	s_cbranch_execz .LBB2_14
.LBB2_3:                                ; =>This Loop Header: Depth=1
                                        ;     Child Loop BB2_6 Depth 2
                                        ;       Child Loop BB2_10 Depth 3
	v_ashrrev_i32_e32 v2, 31, v1
	s_mov_b32 s15, exec_lo
	v_lshlrev_b64 v[2:3], 2, v[1:2]
	s_waitcnt lgkmcnt(0)
	v_add_co_u32 v4, vcc_lo, s4, v2
	v_add_co_ci_u32_e64 v5, null, s5, v3, vcc_lo
	global_load_dwordx2 v[4:5], v[4:5], off
	s_waitcnt vmcnt(0)
	v_sub_nc_u32_e32 v10, v5, v4
	v_add_nc_u32_e32 v5, s1, v10
	v_mul_hi_u32 v11, v5, v9
	v_mul_lo_u32 v11, v11, s3
	v_sub_nc_u32_e32 v11, v5, v11
	v_subrev_nc_u32_e32 v12, s3, v11
	v_cmp_le_u32_e32 vcc_lo, s3, v11
	v_cndmask_b32_e32 v11, v11, v12, vcc_lo
	v_subrev_nc_u32_e32 v12, s3, v11
	v_cmp_le_u32_e32 vcc_lo, s3, v11
	v_cndmask_b32_e32 v11, v11, v12, vcc_lo
	v_sub_nc_u32_e32 v11, v5, v11
	v_mov_b32_e32 v5, 0
	v_cmpx_lt_i32_e64 v0, v11
	s_cbranch_execz .LBB2_12
; %bb.4:                                ;   in Loop: Header=BB2_3 Depth=1
	v_ashrrev_i32_e32 v5, 31, v4
	s_mov_b32 s16, 0
	v_lshlrev_b64 v[12:13], 2, v[4:5]
	v_mov_b32_e32 v5, 0
	v_mov_b32_e32 v4, v0
	v_add_co_u32 v12, vcc_lo, s6, v12
	v_add_co_ci_u32_e64 v13, null, s7, v13, vcc_lo
	s_inst_prefetch 0x1
	s_branch .LBB2_6
	.p2align	6
.LBB2_5:                                ;   in Loop: Header=BB2_6 Depth=2
	v_add_nc_u32_e32 v4, s3, v4
	s_waitcnt vmcnt(0) lgkmcnt(0)
	v_add_f32_e32 v5, v5, v14
	v_cmp_ge_i32_e32 vcc_lo, v4, v11
	s_or_b32 s16, vcc_lo, s16
	s_andn2_b32 exec_lo, exec_lo, s16
	s_cbranch_execz .LBB2_11
.LBB2_6:                                ;   Parent Loop BB2_3 Depth=1
                                        ; =>  This Loop Header: Depth=2
                                        ;       Child Loop BB2_10 Depth 3
	ds_bpermute_b32 v14, v8, v5
	v_mov_b32_e32 v5, 0
	s_mov_b32 s17, exec_lo
	v_cmpx_lt_i32_e64 v4, v10
	s_cbranch_execz .LBB2_8
; %bb.7:                                ;   in Loop: Header=BB2_6 Depth=2
	v_ashrrev_i32_e32 v5, 31, v4
	v_lshlrev_b64 v[15:16], 2, v[4:5]
	v_add_co_u32 v15, vcc_lo, v12, v15
	v_add_co_ci_u32_e64 v16, null, v13, v16, vcc_lo
	global_load_dword v15, v[15:16], off
	s_waitcnt vmcnt(0)
	v_ashrrev_i32_e32 v16, 31, v15
	v_lshlrev_b64 v[15:16], 2, v[15:16]
	v_add_co_u32 v15, vcc_lo, s8, v15
	v_add_co_ci_u32_e64 v16, null, s9, v16, vcc_lo
	global_load_dword v5, v[15:16], off
.LBB2_8:                                ;   in Loop: Header=BB2_6 Depth=2
	s_or_b32 exec_lo, exec_lo, s17
	s_andn2_b32 vcc_lo, exec_lo, s12
	s_cbranch_vccnz .LBB2_5
; %bb.9:                                ;   in Loop: Header=BB2_6 Depth=2
	s_mov_b32 s17, 1
.LBB2_10:                               ;   Parent Loop BB2_3 Depth=1
                                        ;     Parent Loop BB2_6 Depth=2
                                        ; =>    This Inner Loop Header: Depth=3
	v_subrev_nc_u32_e32 v15, s17, v6
	v_cmp_lt_i32_e32 vcc_lo, v15, v7
	v_cndmask_b32_e32 v15, v15, v6, vcc_lo
	v_cmp_gt_u32_e32 vcc_lo, s17, v0
	s_lshl_b32 s17, s17, 1
	s_cmp_ge_u32 s17, s3
	v_lshlrev_b32_e32 v15, 2, v15
	s_waitcnt vmcnt(0)
	ds_bpermute_b32 v15, v15, v5
	s_waitcnt lgkmcnt(0)
	v_add_f32_e32 v15, v5, v15
	v_cndmask_b32_e32 v5, v15, v5, vcc_lo
	s_cbranch_scc0 .LBB2_10
	s_branch .LBB2_5
.LBB2_11:                               ;   in Loop: Header=BB2_3 Depth=1
	s_inst_prefetch 0x2
	s_or_b32 exec_lo, exec_lo, s16
.LBB2_12:                               ;   in Loop: Header=BB2_3 Depth=1
	s_or_b32 exec_lo, exec_lo, s15
	ds_bpermute_b32 v4, v8, v5
	s_and_saveexec_b32 s15, s0
	s_cbranch_execz .LBB2_2
; %bb.13:                               ;   in Loop: Header=BB2_3 Depth=1
	v_add_co_u32 v2, vcc_lo, s10, v2
	v_add_co_ci_u32_e64 v3, null, s11, v3, vcc_lo
	s_waitcnt lgkmcnt(0)
	global_store_dword v[2:3], v4, off
	s_branch .LBB2_2
.LBB2_14:
	s_endpgm
	.section	.rodata,"a",@progbits
	.p2align	6, 0x0
	.amdhsa_kernel _Z15jaccard_row_sumILb1EfEviPKiS1_PKT0_PS2_
		.amdhsa_group_segment_fixed_size 0
		.amdhsa_private_segment_fixed_size 0
		.amdhsa_kernarg_size 296
		.amdhsa_user_sgpr_count 6
		.amdhsa_user_sgpr_private_segment_buffer 1
		.amdhsa_user_sgpr_dispatch_ptr 0
		.amdhsa_user_sgpr_queue_ptr 0
		.amdhsa_user_sgpr_kernarg_segment_ptr 1
		.amdhsa_user_sgpr_dispatch_id 0
		.amdhsa_user_sgpr_flat_scratch_init 0
		.amdhsa_user_sgpr_private_segment_size 0
		.amdhsa_wavefront_size32 1
		.amdhsa_uses_dynamic_stack 0
		.amdhsa_system_sgpr_private_segment_wavefront_offset 0
		.amdhsa_system_sgpr_workgroup_id_x 1
		.amdhsa_system_sgpr_workgroup_id_y 1
		.amdhsa_system_sgpr_workgroup_id_z 0
		.amdhsa_system_sgpr_workgroup_info 0
		.amdhsa_system_vgpr_workitem_id 1
		.amdhsa_next_free_vgpr 17
		.amdhsa_next_free_sgpr 18
		.amdhsa_reserve_vcc 1
		.amdhsa_reserve_flat_scratch 0
		.amdhsa_float_round_mode_32 0
		.amdhsa_float_round_mode_16_64 0
		.amdhsa_float_denorm_mode_32 3
		.amdhsa_float_denorm_mode_16_64 3
		.amdhsa_dx10_clamp 1
		.amdhsa_ieee_mode 1
		.amdhsa_fp16_overflow 0
		.amdhsa_workgroup_processor_mode 1
		.amdhsa_memory_ordered 1
		.amdhsa_forward_progress 1
		.amdhsa_shared_vgpr_count 0
		.amdhsa_exception_fp_ieee_invalid_op 0
		.amdhsa_exception_fp_denorm_src 0
		.amdhsa_exception_fp_ieee_div_zero 0
		.amdhsa_exception_fp_ieee_overflow 0
		.amdhsa_exception_fp_ieee_underflow 0
		.amdhsa_exception_fp_ieee_inexact 0
		.amdhsa_exception_int_div_zero 0
	.end_amdhsa_kernel
	.section	.text._Z15jaccard_row_sumILb1EfEviPKiS1_PKT0_PS2_,"axG",@progbits,_Z15jaccard_row_sumILb1EfEviPKiS1_PKT0_PS2_,comdat
.Lfunc_end2:
	.size	_Z15jaccard_row_sumILb1EfEviPKiS1_PKT0_PS2_, .Lfunc_end2-_Z15jaccard_row_sumILb1EfEviPKiS1_PKT0_PS2_
                                        ; -- End function
	.set _Z15jaccard_row_sumILb1EfEviPKiS1_PKT0_PS2_.num_vgpr, 17
	.set _Z15jaccard_row_sumILb1EfEviPKiS1_PKT0_PS2_.num_agpr, 0
	.set _Z15jaccard_row_sumILb1EfEviPKiS1_PKT0_PS2_.numbered_sgpr, 18
	.set _Z15jaccard_row_sumILb1EfEviPKiS1_PKT0_PS2_.num_named_barrier, 0
	.set _Z15jaccard_row_sumILb1EfEviPKiS1_PKT0_PS2_.private_seg_size, 0
	.set _Z15jaccard_row_sumILb1EfEviPKiS1_PKT0_PS2_.uses_vcc, 1
	.set _Z15jaccard_row_sumILb1EfEviPKiS1_PKT0_PS2_.uses_flat_scratch, 0
	.set _Z15jaccard_row_sumILb1EfEviPKiS1_PKT0_PS2_.has_dyn_sized_stack, 0
	.set _Z15jaccard_row_sumILb1EfEviPKiS1_PKT0_PS2_.has_recursion, 0
	.set _Z15jaccard_row_sumILb1EfEviPKiS1_PKT0_PS2_.has_indirect_call, 0
	.section	.AMDGPU.csdata,"",@progbits
; Kernel info:
; codeLenInByte = 720
; TotalNumSgprs: 20
; NumVgprs: 17
; ScratchSize: 0
; MemoryBound: 0
; FloatMode: 240
; IeeeMode: 1
; LDSByteSize: 0 bytes/workgroup (compile time only)
; SGPRBlocks: 0
; VGPRBlocks: 2
; NumSGPRsForWavesPerEU: 20
; NumVGPRsForWavesPerEU: 17
; Occupancy: 16
; WaveLimiterHint : 1
; COMPUTE_PGM_RSRC2:SCRATCH_EN: 0
; COMPUTE_PGM_RSRC2:USER_SGPR: 6
; COMPUTE_PGM_RSRC2:TRAP_HANDLER: 0
; COMPUTE_PGM_RSRC2:TGID_X_EN: 1
; COMPUTE_PGM_RSRC2:TGID_Y_EN: 1
; COMPUTE_PGM_RSRC2:TGID_Z_EN: 0
; COMPUTE_PGM_RSRC2:TIDIG_COMP_CNT: 1
	.section	.text._Z14jaccard_is_optILb1EfEviiPKiS1_PKT0_S4_PS2_S5_,"axG",@progbits,_Z14jaccard_is_optILb1EfEviiPKiS1_PKT0_S4_PS2_S5_,comdat
	.protected	_Z14jaccard_is_optILb1EfEviiPKiS1_PKT0_S4_PS2_S5_ ; -- Begin function _Z14jaccard_is_optILb1EfEviiPKiS1_PKT0_S4_PS2_S5_
	.globl	_Z14jaccard_is_optILb1EfEviiPKiS1_PKT0_S4_PS2_S5_
	.p2align	8
	.type	_Z14jaccard_is_optILb1EfEviiPKiS1_PKT0_S4_PS2_S5_,@function
_Z14jaccard_is_optILb1EfEviiPKiS1_PKT0_S4_PS2_S5_: ; @_Z14jaccard_is_optILb1EfEviiPKiS1_PKT0_S4_PS2_S5_
; %bb.0:
	s_clause 0x1
	s_load_dword s3, s[4:5], 0x48
	s_load_dword s2, s[4:5], 0x0
	s_add_u32 s0, s4, 56
	s_addc_u32 s1, s5, 0
	s_waitcnt lgkmcnt(0)
	s_and_b32 s6, s3, 0xffff
	s_mov_b32 s3, exec_lo
	v_mad_u64_u32 v[2:3], null, s8, s6, v[2:3]
	v_cmpx_gt_i32_e64 s2, v2
	s_cbranch_execz .LBB3_22
; %bb.1:
	s_clause 0x1
	s_load_dword s3, s[0:1], 0xc
	s_load_dwordx2 s[0:1], s[0:1], 0x4
	s_clause 0x1
	s_load_dwordx8 s[8:15], s[4:5], 0x8
	s_load_dwordx4 s[16:19], s[4:5], 0x28
	v_cmp_eq_u32_e32 vcc_lo, 0, v0
	s_waitcnt lgkmcnt(0)
	s_lshr_b32 s4, s3, 16
	s_mov_b32 s3, 0
	v_mad_u64_u32 v[4:5], null, s7, s4, v[1:2]
	s_mul_i32 s4, s0, s4
	s_mul_i32 s5, s1, s6
	s_branch .LBB3_3
.LBB3_2:                                ;   in Loop: Header=BB3_3 Depth=1
	s_or_b32 exec_lo, exec_lo, s6
	v_add_nc_u32_e32 v2, s5, v2
	v_cmp_le_i32_e64 s0, s2, v2
	s_or_b32 s3, s0, s3
	s_andn2_b32 exec_lo, exec_lo, s3
	s_cbranch_execz .LBB3_22
.LBB3_3:                                ; =>This Loop Header: Depth=1
                                        ;     Child Loop BB3_6 Depth 2
                                        ;       Child Loop BB3_10 Depth 3
                                        ;       Child Loop BB3_21 Depth 3
	v_ashrrev_i32_e32 v3, 31, v2
	s_mov_b32 s6, exec_lo
	v_lshlrev_b64 v[6:7], 2, v[2:3]
	v_add_co_u32 v0, s0, s8, v6
	v_add_co_ci_u32_e64 v1, null, s9, v7, s0
	global_load_dwordx2 v[0:1], v[0:1], off
	s_waitcnt vmcnt(0)
	v_add_nc_u32_e32 v5, v0, v4
	v_cmpx_lt_i32_e64 v5, v1
	s_cbranch_execz .LBB3_2
; %bb.4:                                ;   in Loop: Header=BB3_3 Depth=1
	v_add_co_u32 v6, s0, s14, v6
	v_add_co_ci_u32_e64 v7, null, s15, v7, s0
	v_sub_nc_u32_e32 v0, v1, v0
	s_mov_b32 s7, 0
	global_load_dword v3, v[6:7], off
	s_branch .LBB3_6
.LBB3_5:                                ;   in Loop: Header=BB3_6 Depth=2
	s_or_b32 exec_lo, exec_lo, s20
	v_add_nc_u32_e32 v5, s4, v5
	v_cmp_ge_i32_e64 s0, v5, v1
	s_or_b32 s7, s0, s7
	s_andn2_b32 exec_lo, exec_lo, s7
	s_cbranch_execz .LBB3_2
.LBB3_6:                                ;   Parent Loop BB3_3 Depth=1
                                        ; =>  This Loop Header: Depth=2
                                        ;       Child Loop BB3_10 Depth 3
                                        ;       Child Loop BB3_21 Depth 3
	v_ashrrev_i32_e32 v6, 31, v5
	v_lshlrev_b64 v[6:7], 2, v[5:6]
	v_add_co_u32 v8, s0, s10, v6
	v_add_co_ci_u32_e64 v9, null, s11, v7, s0
	global_load_dword v8, v[8:9], off
	s_waitcnt vmcnt(0)
	v_ashrrev_i32_e32 v9, 31, v8
	v_lshlrev_b64 v[9:10], 2, v[8:9]
	v_add_co_u32 v11, s0, s14, v9
	v_add_co_ci_u32_e64 v12, null, s15, v10, s0
	global_load_dword v11, v[11:12], off
	s_waitcnt vmcnt(0)
	v_add_f32_e32 v13, v3, v11
	v_add_co_u32 v11, s0, s18, v6
	v_add_co_ci_u32_e64 v12, null, s19, v7, s0
	global_store_dword v[11:12], v13, off
	s_and_saveexec_b32 s20, vcc_lo
	s_cbranch_execz .LBB3_5
; %bb.7:                                ;   in Loop: Header=BB3_6 Depth=2
	v_add_co_u32 v9, s0, s8, v9
	v_add_co_ci_u32_e64 v10, null, s9, v10, s0
	v_mov_b32_e32 v17, 0
	global_load_dwordx2 v[9:10], v[9:10], off
	s_waitcnt vmcnt(0)
	v_sub_nc_u32_e32 v9, v10, v9
	v_cmp_lt_i32_e64 s0, v0, v9
	v_cndmask_b32_e64 v11, v8, v2, s0
	v_cndmask_b32_e64 v9, v2, v8, s0
	v_ashrrev_i32_e32 v12, 31, v11
	v_ashrrev_i32_e32 v10, 31, v9
	v_lshlrev_b64 v[11:12], 2, v[11:12]
	v_lshlrev_b64 v[8:9], 2, v[9:10]
	v_add_co_u32 v10, s0, s8, v11
	v_add_co_ci_u32_e64 v11, null, s9, v12, s0
	v_add_co_u32 v12, s0, s8, v8
	v_add_co_ci_u32_e64 v13, null, s9, v9, s0
	s_clause 0x1
	global_load_dwordx2 v[8:9], v[10:11], off
	global_load_dwordx2 v[10:11], v[12:13], off
	s_waitcnt vmcnt(1)
	v_cmp_lt_i32_e64 s0, v8, v9
	s_waitcnt vmcnt(0)
	v_cmp_lt_i32_e64 s1, v10, v11
	s_and_b32 s0, s0, s1
	s_and_saveexec_b32 s21, s0
	s_cbranch_execz .LBB3_19
; %bb.8:                                ;   in Loop: Header=BB3_6 Depth=2
	v_mov_b32_e32 v17, 0
	v_mov_b32_e32 v12, v8
	;; [unrolled: 1-line block ×3, first 2 shown]
	s_mov_b32 s22, 0
	s_branch .LBB3_10
.LBB3_9:                                ;   in Loop: Header=BB3_10 Depth=3
	s_or_b32 exec_lo, exec_lo, s1
	v_cmp_ge_i32_e64 s0, v12, v9
	v_cmp_ge_i32_e64 s1, v14, v11
	s_or_b32 s0, s0, s1
	s_and_b32 s0, exec_lo, s0
	s_or_b32 s22, s0, s22
	s_andn2_b32 exec_lo, exec_lo, s22
	s_cbranch_execz .LBB3_18
.LBB3_10:                               ;   Parent Loop BB3_3 Depth=1
                                        ;     Parent Loop BB3_6 Depth=2
                                        ; =>    This Inner Loop Header: Depth=3
	v_ashrrev_i32_e32 v13, 31, v12
	v_ashrrev_i32_e32 v15, 31, v14
	s_mov_b32 s1, exec_lo
	v_lshlrev_b64 v[18:19], 2, v[12:13]
	v_lshlrev_b64 v[15:16], 2, v[14:15]
	v_add_co_u32 v18, s0, s10, v18
	v_add_co_ci_u32_e64 v19, null, s11, v19, s0
	v_add_co_u32 v20, s0, s10, v15
	v_add_co_ci_u32_e64 v21, null, s11, v16, s0
	s_clause 0x1
	global_load_dword v15, v[18:19], off
	global_load_dword v8, v[20:21], off
	s_waitcnt vmcnt(0)
	v_cmpx_ne_u32_e64 v15, v8
	s_xor_b32 s1, exec_lo, s1
	s_cbranch_execz .LBB3_16
; %bb.11:                               ;   in Loop: Header=BB3_10 Depth=3
	v_cmp_ge_i32_e64 s0, v15, v8
	s_and_saveexec_b32 s23, s0
	s_xor_b32 s0, exec_lo, s23
; %bb.12:                               ;   in Loop: Header=BB3_10 Depth=3
	v_add_nc_u32_e32 v14, 1, v14
; %bb.13:                               ;   in Loop: Header=BB3_10 Depth=3
	s_andn2_saveexec_b32 s0, s0
; %bb.14:                               ;   in Loop: Header=BB3_10 Depth=3
	v_add_nc_u32_e32 v12, 1, v12
; %bb.15:                               ;   in Loop: Header=BB3_10 Depth=3
	s_or_b32 exec_lo, exec_lo, s0
                                        ; implicit-def: $vgpr15
.LBB3_16:                               ;   in Loop: Header=BB3_10 Depth=3
	s_andn2_saveexec_b32 s1, s1
	s_cbranch_execz .LBB3_9
; %bb.17:                               ;   in Loop: Header=BB3_10 Depth=3
	v_ashrrev_i32_e32 v16, 31, v15
	v_add_nc_u32_e32 v12, 1, v12
	v_add_nc_u32_e32 v14, 1, v14
	v_lshlrev_b64 v[15:16], 2, v[15:16]
	v_add_co_u32 v15, s0, s12, v15
	v_add_co_ci_u32_e64 v16, null, s13, v16, s0
	global_load_dword v8, v[15:16], off
	s_waitcnt vmcnt(0)
	v_add_f32_e32 v17, v17, v8
	s_branch .LBB3_9
.LBB3_18:                               ;   in Loop: Header=BB3_6 Depth=2
	s_or_b32 exec_lo, exec_lo, s22
.LBB3_19:                               ;   in Loop: Header=BB3_6 Depth=2
	s_or_b32 exec_lo, exec_lo, s21
	v_cmp_neq_f32_e64 s0, 0, v17
	s_and_b32 exec_lo, exec_lo, s0
	s_cbranch_execz .LBB3_5
; %bb.20:                               ;   in Loop: Header=BB3_6 Depth=2
	v_add_co_u32 v6, s0, s16, v6
	v_add_co_ci_u32_e64 v7, null, s17, v7, s0
	s_mov_b32 s1, 0
	global_load_dword v9, v[6:7], off
.LBB3_21:                               ;   Parent Loop BB3_3 Depth=1
                                        ;     Parent Loop BB3_6 Depth=2
                                        ; =>    This Inner Loop Header: Depth=3
	s_waitcnt vmcnt(0)
	v_add_f32_e32 v8, v9, v17
	global_atomic_cmpswap v8, v[6:7], v[8:9], off glc
	s_waitcnt vmcnt(0)
	v_cmp_eq_u32_e64 s0, v8, v9
	v_mov_b32_e32 v9, v8
	s_or_b32 s1, s0, s1
	s_andn2_b32 exec_lo, exec_lo, s1
	s_cbranch_execnz .LBB3_21
	s_branch .LBB3_5
.LBB3_22:
	s_endpgm
	.section	.rodata,"a",@progbits
	.p2align	6, 0x0
	.amdhsa_kernel _Z14jaccard_is_optILb1EfEviiPKiS1_PKT0_S4_PS2_S5_
		.amdhsa_group_segment_fixed_size 0
		.amdhsa_private_segment_fixed_size 0
		.amdhsa_kernarg_size 312
		.amdhsa_user_sgpr_count 6
		.amdhsa_user_sgpr_private_segment_buffer 1
		.amdhsa_user_sgpr_dispatch_ptr 0
		.amdhsa_user_sgpr_queue_ptr 0
		.amdhsa_user_sgpr_kernarg_segment_ptr 1
		.amdhsa_user_sgpr_dispatch_id 0
		.amdhsa_user_sgpr_flat_scratch_init 0
		.amdhsa_user_sgpr_private_segment_size 0
		.amdhsa_wavefront_size32 1
		.amdhsa_uses_dynamic_stack 0
		.amdhsa_system_sgpr_private_segment_wavefront_offset 0
		.amdhsa_system_sgpr_workgroup_id_x 1
		.amdhsa_system_sgpr_workgroup_id_y 1
		.amdhsa_system_sgpr_workgroup_id_z 1
		.amdhsa_system_sgpr_workgroup_info 0
		.amdhsa_system_vgpr_workitem_id 2
		.amdhsa_next_free_vgpr 22
		.amdhsa_next_free_sgpr 24
		.amdhsa_reserve_vcc 1
		.amdhsa_reserve_flat_scratch 0
		.amdhsa_float_round_mode_32 0
		.amdhsa_float_round_mode_16_64 0
		.amdhsa_float_denorm_mode_32 3
		.amdhsa_float_denorm_mode_16_64 3
		.amdhsa_dx10_clamp 1
		.amdhsa_ieee_mode 1
		.amdhsa_fp16_overflow 0
		.amdhsa_workgroup_processor_mode 1
		.amdhsa_memory_ordered 1
		.amdhsa_forward_progress 1
		.amdhsa_shared_vgpr_count 0
		.amdhsa_exception_fp_ieee_invalid_op 0
		.amdhsa_exception_fp_denorm_src 0
		.amdhsa_exception_fp_ieee_div_zero 0
		.amdhsa_exception_fp_ieee_overflow 0
		.amdhsa_exception_fp_ieee_underflow 0
		.amdhsa_exception_fp_ieee_inexact 0
		.amdhsa_exception_int_div_zero 0
	.end_amdhsa_kernel
	.section	.text._Z14jaccard_is_optILb1EfEviiPKiS1_PKT0_S4_PS2_S5_,"axG",@progbits,_Z14jaccard_is_optILb1EfEviiPKiS1_PKT0_S4_PS2_S5_,comdat
.Lfunc_end3:
	.size	_Z14jaccard_is_optILb1EfEviiPKiS1_PKT0_S4_PS2_S5_, .Lfunc_end3-_Z14jaccard_is_optILb1EfEviiPKiS1_PKT0_S4_PS2_S5_
                                        ; -- End function
	.set _Z14jaccard_is_optILb1EfEviiPKiS1_PKT0_S4_PS2_S5_.num_vgpr, 22
	.set _Z14jaccard_is_optILb1EfEviiPKiS1_PKT0_S4_PS2_S5_.num_agpr, 0
	.set _Z14jaccard_is_optILb1EfEviiPKiS1_PKT0_S4_PS2_S5_.numbered_sgpr, 24
	.set _Z14jaccard_is_optILb1EfEviiPKiS1_PKT0_S4_PS2_S5_.num_named_barrier, 0
	.set _Z14jaccard_is_optILb1EfEviiPKiS1_PKT0_S4_PS2_S5_.private_seg_size, 0
	.set _Z14jaccard_is_optILb1EfEviiPKiS1_PKT0_S4_PS2_S5_.uses_vcc, 1
	.set _Z14jaccard_is_optILb1EfEviiPKiS1_PKT0_S4_PS2_S5_.uses_flat_scratch, 0
	.set _Z14jaccard_is_optILb1EfEviiPKiS1_PKT0_S4_PS2_S5_.has_dyn_sized_stack, 0
	.set _Z14jaccard_is_optILb1EfEviiPKiS1_PKT0_S4_PS2_S5_.has_recursion, 0
	.set _Z14jaccard_is_optILb1EfEviiPKiS1_PKT0_S4_PS2_S5_.has_indirect_call, 0
	.section	.AMDGPU.csdata,"",@progbits
; Kernel info:
; codeLenInByte = 940
; TotalNumSgprs: 26
; NumVgprs: 22
; ScratchSize: 0
; MemoryBound: 0
; FloatMode: 240
; IeeeMode: 1
; LDSByteSize: 0 bytes/workgroup (compile time only)
; SGPRBlocks: 0
; VGPRBlocks: 2
; NumSGPRsForWavesPerEU: 26
; NumVGPRsForWavesPerEU: 22
; Occupancy: 16
; WaveLimiterHint : 1
; COMPUTE_PGM_RSRC2:SCRATCH_EN: 0
; COMPUTE_PGM_RSRC2:USER_SGPR: 6
; COMPUTE_PGM_RSRC2:TRAP_HANDLER: 0
; COMPUTE_PGM_RSRC2:TGID_X_EN: 1
; COMPUTE_PGM_RSRC2:TGID_Y_EN: 1
; COMPUTE_PGM_RSRC2:TGID_Z_EN: 1
; COMPUTE_PGM_RSRC2:TIDIG_COMP_CNT: 2
	.section	.text._Z10jaccard_jwILb1EfEviPKT0_S0_S2_S2_PS0_,"axG",@progbits,_Z10jaccard_jwILb1EfEviPKT0_S0_S2_S2_PS0_,comdat
	.protected	_Z10jaccard_jwILb1EfEviPKT0_S0_S2_S2_PS0_ ; -- Begin function _Z10jaccard_jwILb1EfEviPKT0_S0_S2_S2_PS0_
	.globl	_Z10jaccard_jwILb1EfEviPKT0_S0_S2_S2_PS0_
	.p2align	8
	.type	_Z10jaccard_jwILb1EfEviPKT0_S0_S2_S2_PS0_,@function
_Z10jaccard_jwILb1EfEviPKT0_S0_S2_S2_PS0_: ; @_Z10jaccard_jwILb1EfEviPKT0_S0_S2_S2_PS0_
; %bb.0:
	s_clause 0x1
	s_load_dword s2, s[4:5], 0x3c
	s_load_dword s12, s[4:5], 0x0
	s_add_u32 s0, s4, 48
	s_addc_u32 s1, s5, 0
	s_waitcnt lgkmcnt(0)
	s_and_b32 s13, s2, 0xffff
	s_mov_b32 s2, exec_lo
	v_mad_u64_u32 v[0:1], null, s6, s13, v[0:1]
	v_cmpx_gt_i32_e64 s12, v0
	s_cbranch_execz .LBB4_3
; %bb.1:
	s_load_dword s0, s[0:1], 0x0
	s_clause 0x3
	s_load_dwordx4 s[8:11], s[4:5], 0x18
	s_load_dwordx2 s[2:3], s[4:5], 0x28
	s_load_dwordx2 s[6:7], s[4:5], 0x8
	s_load_dword s1, s[4:5], 0x10
	s_mov_b32 s5, 0
	s_waitcnt lgkmcnt(0)
	s_mul_i32 s4, s0, s13
.LBB4_2:                                ; =>This Inner Loop Header: Depth=1
	v_ashrrev_i32_e32 v1, 31, v0
	v_lshlrev_b64 v[1:2], 2, v[0:1]
	v_add_nc_u32_e32 v0, s4, v0
	v_add_co_u32 v3, vcc_lo, s8, v1
	v_add_co_ci_u32_e64 v4, null, s9, v2, vcc_lo
	v_add_co_u32 v5, vcc_lo, s10, v1
	v_add_co_ci_u32_e64 v6, null, s11, v2, vcc_lo
	global_load_dword v7, v[3:4], off
	global_load_dword v5, v[5:6], off
	v_add_co_u32 v3, vcc_lo, s6, v1
	v_add_co_ci_u32_e64 v4, null, s7, v2, vcc_lo
	v_add_co_u32 v1, s0, s2, v1
	v_add_co_ci_u32_e64 v2, null, s3, v2, s0
	global_load_dword v3, v[3:4], off
	s_waitcnt vmcnt(1)
	v_sub_f32_e32 v4, v5, v7
	v_div_scale_f32 v5, null, v4, v4, v7
	v_div_scale_f32 v9, vcc_lo, v7, v4, v7
	s_waitcnt vmcnt(0)
	v_mul_f32_e32 v3, s1, v3
	v_rcp_f32_e32 v6, v5
	v_fma_f32 v8, -v5, v6, 1.0
	v_fmac_f32_e32 v6, v8, v6
	v_mul_f32_e32 v8, v9, v6
	v_fma_f32 v10, -v5, v8, v9
	v_fmac_f32_e32 v8, v10, v6
	v_fma_f32 v5, -v5, v8, v9
	v_div_fmas_f32 v5, v5, v6, v8
	v_cmp_le_i32_e32 vcc_lo, s12, v0
	v_div_fixup_f32 v4, v5, v4, v7
	s_or_b32 s5, vcc_lo, s5
	v_mul_f32_e32 v3, v3, v4
	global_store_dword v[1:2], v3, off
	s_andn2_b32 exec_lo, exec_lo, s5
	s_cbranch_execnz .LBB4_2
.LBB4_3:
	s_endpgm
	.section	.rodata,"a",@progbits
	.p2align	6, 0x0
	.amdhsa_kernel _Z10jaccard_jwILb1EfEviPKT0_S0_S2_S2_PS0_
		.amdhsa_group_segment_fixed_size 0
		.amdhsa_private_segment_fixed_size 0
		.amdhsa_kernarg_size 304
		.amdhsa_user_sgpr_count 6
		.amdhsa_user_sgpr_private_segment_buffer 1
		.amdhsa_user_sgpr_dispatch_ptr 0
		.amdhsa_user_sgpr_queue_ptr 0
		.amdhsa_user_sgpr_kernarg_segment_ptr 1
		.amdhsa_user_sgpr_dispatch_id 0
		.amdhsa_user_sgpr_flat_scratch_init 0
		.amdhsa_user_sgpr_private_segment_size 0
		.amdhsa_wavefront_size32 1
		.amdhsa_uses_dynamic_stack 0
		.amdhsa_system_sgpr_private_segment_wavefront_offset 0
		.amdhsa_system_sgpr_workgroup_id_x 1
		.amdhsa_system_sgpr_workgroup_id_y 0
		.amdhsa_system_sgpr_workgroup_id_z 0
		.amdhsa_system_sgpr_workgroup_info 0
		.amdhsa_system_vgpr_workitem_id 0
		.amdhsa_next_free_vgpr 11
		.amdhsa_next_free_sgpr 14
		.amdhsa_reserve_vcc 1
		.amdhsa_reserve_flat_scratch 0
		.amdhsa_float_round_mode_32 0
		.amdhsa_float_round_mode_16_64 0
		.amdhsa_float_denorm_mode_32 3
		.amdhsa_float_denorm_mode_16_64 3
		.amdhsa_dx10_clamp 1
		.amdhsa_ieee_mode 1
		.amdhsa_fp16_overflow 0
		.amdhsa_workgroup_processor_mode 1
		.amdhsa_memory_ordered 1
		.amdhsa_forward_progress 1
		.amdhsa_shared_vgpr_count 0
		.amdhsa_exception_fp_ieee_invalid_op 0
		.amdhsa_exception_fp_denorm_src 0
		.amdhsa_exception_fp_ieee_div_zero 0
		.amdhsa_exception_fp_ieee_overflow 0
		.amdhsa_exception_fp_ieee_underflow 0
		.amdhsa_exception_fp_ieee_inexact 0
		.amdhsa_exception_int_div_zero 0
	.end_amdhsa_kernel
	.section	.text._Z10jaccard_jwILb1EfEviPKT0_S0_S2_S2_PS0_,"axG",@progbits,_Z10jaccard_jwILb1EfEviPKT0_S0_S2_S2_PS0_,comdat
.Lfunc_end4:
	.size	_Z10jaccard_jwILb1EfEviPKT0_S0_S2_S2_PS0_, .Lfunc_end4-_Z10jaccard_jwILb1EfEviPKT0_S0_S2_S2_PS0_
                                        ; -- End function
	.set _Z10jaccard_jwILb1EfEviPKT0_S0_S2_S2_PS0_.num_vgpr, 11
	.set _Z10jaccard_jwILb1EfEviPKT0_S0_S2_S2_PS0_.num_agpr, 0
	.set _Z10jaccard_jwILb1EfEviPKT0_S0_S2_S2_PS0_.numbered_sgpr, 14
	.set _Z10jaccard_jwILb1EfEviPKT0_S0_S2_S2_PS0_.num_named_barrier, 0
	.set _Z10jaccard_jwILb1EfEviPKT0_S0_S2_S2_PS0_.private_seg_size, 0
	.set _Z10jaccard_jwILb1EfEviPKT0_S0_S2_S2_PS0_.uses_vcc, 1
	.set _Z10jaccard_jwILb1EfEviPKT0_S0_S2_S2_PS0_.uses_flat_scratch, 0
	.set _Z10jaccard_jwILb1EfEviPKT0_S0_S2_S2_PS0_.has_dyn_sized_stack, 0
	.set _Z10jaccard_jwILb1EfEviPKT0_S0_S2_S2_PS0_.has_recursion, 0
	.set _Z10jaccard_jwILb1EfEviPKT0_S0_S2_S2_PS0_.has_indirect_call, 0
	.section	.AMDGPU.csdata,"",@progbits
; Kernel info:
; codeLenInByte = 344
; TotalNumSgprs: 16
; NumVgprs: 11
; ScratchSize: 0
; MemoryBound: 0
; FloatMode: 240
; IeeeMode: 1
; LDSByteSize: 0 bytes/workgroup (compile time only)
; SGPRBlocks: 0
; VGPRBlocks: 1
; NumSGPRsForWavesPerEU: 16
; NumVGPRsForWavesPerEU: 11
; Occupancy: 16
; WaveLimiterHint : 0
; COMPUTE_PGM_RSRC2:SCRATCH_EN: 0
; COMPUTE_PGM_RSRC2:USER_SGPR: 6
; COMPUTE_PGM_RSRC2:TRAP_HANDLER: 0
; COMPUTE_PGM_RSRC2:TGID_X_EN: 1
; COMPUTE_PGM_RSRC2:TGID_Y_EN: 0
; COMPUTE_PGM_RSRC2:TGID_Z_EN: 0
; COMPUTE_PGM_RSRC2:TIDIG_COMP_CNT: 0
	.section	.text._Z15jaccard_row_sumILb0EfEviPKiS1_PKT0_PS2_,"axG",@progbits,_Z15jaccard_row_sumILb0EfEviPKiS1_PKT0_PS2_,comdat
	.protected	_Z15jaccard_row_sumILb0EfEviPKiS1_PKT0_PS2_ ; -- Begin function _Z15jaccard_row_sumILb0EfEviPKiS1_PKT0_PS2_
	.globl	_Z15jaccard_row_sumILb0EfEviPKiS1_PKT0_PS2_
	.p2align	8
	.type	_Z15jaccard_row_sumILb0EfEviPKiS1_PKT0_PS2_,@function
_Z15jaccard_row_sumILb0EfEviPKiS1_PKT0_PS2_: ; @_Z15jaccard_row_sumILb0EfEviPKiS1_PKT0_PS2_
; %bb.0:
	s_clause 0x1
	s_load_dword s2, s[4:5], 0x34
	s_load_dword s6, s[4:5], 0x0
	s_add_u32 s0, s4, 40
	s_addc_u32 s1, s5, 0
	s_waitcnt lgkmcnt(0)
	s_lshr_b32 s8, s2, 16
	s_mov_b32 s2, exec_lo
	v_mad_u64_u32 v[0:1], null, s7, s8, v[1:2]
	v_cmpx_gt_i32_e64 s6, v0
	s_cbranch_execz .LBB5_3
; %bb.1:
	s_load_dword s1, s[0:1], 0x4
	s_clause 0x1
	s_load_dwordx2 s[2:3], s[4:5], 0x8
	s_load_dwordx2 s[4:5], s[4:5], 0x20
	s_mov_b32 s7, 0
	s_waitcnt lgkmcnt(0)
	s_mul_i32 s1, s1, s8
	.p2align	6
.LBB5_2:                                ; =>This Inner Loop Header: Depth=1
	v_ashrrev_i32_e32 v1, 31, v0
	v_lshlrev_b64 v[1:2], 2, v[0:1]
	v_add_nc_u32_e32 v0, s1, v0
	v_add_co_u32 v3, vcc_lo, s2, v1
	v_add_co_ci_u32_e64 v4, null, s3, v2, vcc_lo
	v_cmp_le_i32_e32 vcc_lo, s6, v0
	v_add_co_u32 v1, s0, s4, v1
	global_load_dwordx2 v[3:4], v[3:4], off
	v_add_co_ci_u32_e64 v2, null, s5, v2, s0
	s_or_b32 s7, vcc_lo, s7
	s_waitcnt vmcnt(0)
	v_sub_nc_u32_e32 v3, v4, v3
	v_cvt_f32_i32_e32 v3, v3
	global_store_dword v[1:2], v3, off
	s_andn2_b32 exec_lo, exec_lo, s7
	s_cbranch_execnz .LBB5_2
.LBB5_3:
	s_endpgm
	.section	.rodata,"a",@progbits
	.p2align	6, 0x0
	.amdhsa_kernel _Z15jaccard_row_sumILb0EfEviPKiS1_PKT0_PS2_
		.amdhsa_group_segment_fixed_size 0
		.amdhsa_private_segment_fixed_size 0
		.amdhsa_kernarg_size 296
		.amdhsa_user_sgpr_count 6
		.amdhsa_user_sgpr_private_segment_buffer 1
		.amdhsa_user_sgpr_dispatch_ptr 0
		.amdhsa_user_sgpr_queue_ptr 0
		.amdhsa_user_sgpr_kernarg_segment_ptr 1
		.amdhsa_user_sgpr_dispatch_id 0
		.amdhsa_user_sgpr_flat_scratch_init 0
		.amdhsa_user_sgpr_private_segment_size 0
		.amdhsa_wavefront_size32 1
		.amdhsa_uses_dynamic_stack 0
		.amdhsa_system_sgpr_private_segment_wavefront_offset 0
		.amdhsa_system_sgpr_workgroup_id_x 1
		.amdhsa_system_sgpr_workgroup_id_y 1
		.amdhsa_system_sgpr_workgroup_id_z 0
		.amdhsa_system_sgpr_workgroup_info 0
		.amdhsa_system_vgpr_workitem_id 1
		.amdhsa_next_free_vgpr 5
		.amdhsa_next_free_sgpr 9
		.amdhsa_reserve_vcc 1
		.amdhsa_reserve_flat_scratch 0
		.amdhsa_float_round_mode_32 0
		.amdhsa_float_round_mode_16_64 0
		.amdhsa_float_denorm_mode_32 3
		.amdhsa_float_denorm_mode_16_64 3
		.amdhsa_dx10_clamp 1
		.amdhsa_ieee_mode 1
		.amdhsa_fp16_overflow 0
		.amdhsa_workgroup_processor_mode 1
		.amdhsa_memory_ordered 1
		.amdhsa_forward_progress 1
		.amdhsa_shared_vgpr_count 0
		.amdhsa_exception_fp_ieee_invalid_op 0
		.amdhsa_exception_fp_denorm_src 0
		.amdhsa_exception_fp_ieee_div_zero 0
		.amdhsa_exception_fp_ieee_overflow 0
		.amdhsa_exception_fp_ieee_underflow 0
		.amdhsa_exception_fp_ieee_inexact 0
		.amdhsa_exception_int_div_zero 0
	.end_amdhsa_kernel
	.section	.text._Z15jaccard_row_sumILb0EfEviPKiS1_PKT0_PS2_,"axG",@progbits,_Z15jaccard_row_sumILb0EfEviPKiS1_PKT0_PS2_,comdat
.Lfunc_end5:
	.size	_Z15jaccard_row_sumILb0EfEviPKiS1_PKT0_PS2_, .Lfunc_end5-_Z15jaccard_row_sumILb0EfEviPKiS1_PKT0_PS2_
                                        ; -- End function
	.set _Z15jaccard_row_sumILb0EfEviPKiS1_PKT0_PS2_.num_vgpr, 5
	.set _Z15jaccard_row_sumILb0EfEviPKiS1_PKT0_PS2_.num_agpr, 0
	.set _Z15jaccard_row_sumILb0EfEviPKiS1_PKT0_PS2_.numbered_sgpr, 9
	.set _Z15jaccard_row_sumILb0EfEviPKiS1_PKT0_PS2_.num_named_barrier, 0
	.set _Z15jaccard_row_sumILb0EfEviPKiS1_PKT0_PS2_.private_seg_size, 0
	.set _Z15jaccard_row_sumILb0EfEviPKiS1_PKT0_PS2_.uses_vcc, 1
	.set _Z15jaccard_row_sumILb0EfEviPKiS1_PKT0_PS2_.uses_flat_scratch, 0
	.set _Z15jaccard_row_sumILb0EfEviPKiS1_PKT0_PS2_.has_dyn_sized_stack, 0
	.set _Z15jaccard_row_sumILb0EfEviPKiS1_PKT0_PS2_.has_recursion, 0
	.set _Z15jaccard_row_sumILb0EfEviPKiS1_PKT0_PS2_.has_indirect_call, 0
	.section	.AMDGPU.csdata,"",@progbits
; Kernel info:
; codeLenInByte = 224
; TotalNumSgprs: 11
; NumVgprs: 5
; ScratchSize: 0
; MemoryBound: 0
; FloatMode: 240
; IeeeMode: 1
; LDSByteSize: 0 bytes/workgroup (compile time only)
; SGPRBlocks: 0
; VGPRBlocks: 0
; NumSGPRsForWavesPerEU: 11
; NumVGPRsForWavesPerEU: 5
; Occupancy: 16
; WaveLimiterHint : 0
; COMPUTE_PGM_RSRC2:SCRATCH_EN: 0
; COMPUTE_PGM_RSRC2:USER_SGPR: 6
; COMPUTE_PGM_RSRC2:TRAP_HANDLER: 0
; COMPUTE_PGM_RSRC2:TGID_X_EN: 1
; COMPUTE_PGM_RSRC2:TGID_Y_EN: 1
; COMPUTE_PGM_RSRC2:TGID_Z_EN: 0
; COMPUTE_PGM_RSRC2:TIDIG_COMP_CNT: 1
	.section	.text._Z14jaccard_is_optILb0EfEviiPKiS1_PKT0_S4_PS2_S5_,"axG",@progbits,_Z14jaccard_is_optILb0EfEviiPKiS1_PKT0_S4_PS2_S5_,comdat
	.protected	_Z14jaccard_is_optILb0EfEviiPKiS1_PKT0_S4_PS2_S5_ ; -- Begin function _Z14jaccard_is_optILb0EfEviiPKiS1_PKT0_S4_PS2_S5_
	.globl	_Z14jaccard_is_optILb0EfEviiPKiS1_PKT0_S4_PS2_S5_
	.p2align	8
	.type	_Z14jaccard_is_optILb0EfEviiPKiS1_PKT0_S4_PS2_S5_,@function
_Z14jaccard_is_optILb0EfEviiPKiS1_PKT0_S4_PS2_S5_: ; @_Z14jaccard_is_optILb0EfEviiPKiS1_PKT0_S4_PS2_S5_
; %bb.0:
	s_clause 0x1
	s_load_dword s2, s[4:5], 0x48
	s_load_dword s6, s[4:5], 0x0
	s_add_u32 s0, s4, 56
	s_addc_u32 s1, s5, 0
	s_waitcnt lgkmcnt(0)
	s_and_b32 s16, s2, 0xffff
	s_mov_b32 s2, exec_lo
	v_mad_u64_u32 v[2:3], null, s8, s16, v[2:3]
	v_cmpx_gt_i32_e64 s6, v2
	s_cbranch_execz .LBB6_22
; %bb.1:
	s_clause 0x1
	s_load_dword s17, s[0:1], 0xc
	s_load_dwordx2 s[0:1], s[0:1], 0x4
	s_clause 0x2
	s_load_dwordx4 s[8:11], s[4:5], 0x8
	s_load_dwordx4 s[12:15], s[4:5], 0x20
	s_load_dwordx2 s[2:3], s[4:5], 0x30
	s_mov_b32 s4, 0
	v_cmp_eq_u32_e32 vcc_lo, 0, v0
	s_waitcnt lgkmcnt(0)
	s_lshr_b32 s5, s17, 16
	v_mad_u64_u32 v[4:5], null, s7, s5, v[1:2]
	s_mul_i32 s5, s0, s5
	s_mul_i32 s7, s1, s16
	s_branch .LBB6_3
.LBB6_2:                                ;   in Loop: Header=BB6_3 Depth=1
	s_or_b32 exec_lo, exec_lo, s16
	v_add_nc_u32_e32 v2, s7, v2
	v_cmp_le_i32_e64 s0, s6, v2
	s_or_b32 s4, s0, s4
	s_andn2_b32 exec_lo, exec_lo, s4
	s_cbranch_execz .LBB6_22
.LBB6_3:                                ; =>This Loop Header: Depth=1
                                        ;     Child Loop BB6_6 Depth 2
                                        ;       Child Loop BB6_10 Depth 3
                                        ;       Child Loop BB6_21 Depth 3
	v_ashrrev_i32_e32 v3, 31, v2
	s_mov_b32 s16, exec_lo
	v_lshlrev_b64 v[6:7], 2, v[2:3]
	v_add_co_u32 v0, s0, s8, v6
	v_add_co_ci_u32_e64 v1, null, s9, v7, s0
	global_load_dwordx2 v[0:1], v[0:1], off
	s_waitcnt vmcnt(0)
	v_add_nc_u32_e32 v5, v0, v4
	v_cmpx_lt_i32_e64 v5, v1
	s_cbranch_execz .LBB6_2
; %bb.4:                                ;   in Loop: Header=BB6_3 Depth=1
	v_add_co_u32 v6, s0, s12, v6
	v_add_co_ci_u32_e64 v7, null, s13, v7, s0
	v_sub_nc_u32_e32 v0, v1, v0
	s_mov_b32 s17, 0
	global_load_dword v3, v[6:7], off
	s_branch .LBB6_6
.LBB6_5:                                ;   in Loop: Header=BB6_6 Depth=2
	s_or_b32 exec_lo, exec_lo, s18
	v_add_nc_u32_e32 v5, s5, v5
	v_cmp_ge_i32_e64 s0, v5, v1
	s_or_b32 s17, s0, s17
	s_andn2_b32 exec_lo, exec_lo, s17
	s_cbranch_execz .LBB6_2
.LBB6_6:                                ;   Parent Loop BB6_3 Depth=1
                                        ; =>  This Loop Header: Depth=2
                                        ;       Child Loop BB6_10 Depth 3
                                        ;       Child Loop BB6_21 Depth 3
	v_ashrrev_i32_e32 v6, 31, v5
	v_lshlrev_b64 v[6:7], 2, v[5:6]
	v_add_co_u32 v8, s0, s10, v6
	v_add_co_ci_u32_e64 v9, null, s11, v7, s0
	global_load_dword v8, v[8:9], off
	s_waitcnt vmcnt(0)
	v_ashrrev_i32_e32 v9, 31, v8
	v_lshlrev_b64 v[9:10], 2, v[8:9]
	v_add_co_u32 v11, s0, s12, v9
	v_add_co_ci_u32_e64 v12, null, s13, v10, s0
	global_load_dword v11, v[11:12], off
	s_waitcnt vmcnt(0)
	v_add_f32_e32 v13, v3, v11
	v_add_co_u32 v11, s0, s2, v6
	v_add_co_ci_u32_e64 v12, null, s3, v7, s0
	global_store_dword v[11:12], v13, off
	s_and_saveexec_b32 s18, vcc_lo
	s_cbranch_execz .LBB6_5
; %bb.7:                                ;   in Loop: Header=BB6_6 Depth=2
	v_add_co_u32 v9, s0, s8, v9
	v_add_co_ci_u32_e64 v10, null, s9, v10, s0
	v_mov_b32_e32 v16, 0
	global_load_dwordx2 v[9:10], v[9:10], off
	s_waitcnt vmcnt(0)
	v_sub_nc_u32_e32 v9, v10, v9
	v_cmp_lt_i32_e64 s0, v0, v9
	v_cndmask_b32_e64 v11, v8, v2, s0
	v_cndmask_b32_e64 v9, v2, v8, s0
	v_ashrrev_i32_e32 v12, 31, v11
	v_ashrrev_i32_e32 v10, 31, v9
	v_lshlrev_b64 v[11:12], 2, v[11:12]
	v_lshlrev_b64 v[8:9], 2, v[9:10]
	v_add_co_u32 v10, s0, s8, v11
	v_add_co_ci_u32_e64 v11, null, s9, v12, s0
	v_add_co_u32 v12, s0, s8, v8
	v_add_co_ci_u32_e64 v13, null, s9, v9, s0
	s_clause 0x1
	global_load_dwordx2 v[8:9], v[10:11], off
	global_load_dwordx2 v[10:11], v[12:13], off
	s_waitcnt vmcnt(1)
	v_cmp_lt_i32_e64 s0, v8, v9
	s_waitcnt vmcnt(0)
	v_cmp_lt_i32_e64 s1, v10, v11
	s_and_b32 s0, s0, s1
	s_and_saveexec_b32 s19, s0
	s_cbranch_execz .LBB6_19
; %bb.8:                                ;   in Loop: Header=BB6_6 Depth=2
	v_mov_b32_e32 v16, 0
	v_mov_b32_e32 v12, v8
	;; [unrolled: 1-line block ×3, first 2 shown]
	s_mov_b32 s20, 0
	s_branch .LBB6_10
.LBB6_9:                                ;   in Loop: Header=BB6_10 Depth=3
	s_or_b32 exec_lo, exec_lo, s0
	v_cmp_ge_i32_e64 s0, v12, v9
	v_cmp_ge_i32_e64 s1, v14, v11
	s_or_b32 s0, s0, s1
	s_and_b32 s0, exec_lo, s0
	s_or_b32 s20, s0, s20
	s_andn2_b32 exec_lo, exec_lo, s20
	s_cbranch_execz .LBB6_18
.LBB6_10:                               ;   Parent Loop BB6_3 Depth=1
                                        ;     Parent Loop BB6_6 Depth=2
                                        ; =>    This Inner Loop Header: Depth=3
	v_ashrrev_i32_e32 v13, 31, v12
	v_ashrrev_i32_e32 v15, 31, v14
	s_mov_b32 s1, exec_lo
	v_lshlrev_b64 v[17:18], 2, v[12:13]
	v_lshlrev_b64 v[19:20], 2, v[14:15]
	v_add_co_u32 v17, s0, s10, v17
	v_add_co_ci_u32_e64 v18, null, s11, v18, s0
	v_add_co_u32 v19, s0, s10, v19
	v_add_co_ci_u32_e64 v20, null, s11, v20, s0
	s_clause 0x1
	global_load_dword v8, v[17:18], off
	global_load_dword v10, v[19:20], off
	s_waitcnt vmcnt(0)
	v_cmpx_ne_u32_e64 v8, v10
	s_xor_b32 s1, exec_lo, s1
	s_cbranch_execz .LBB6_16
; %bb.11:                               ;   in Loop: Header=BB6_10 Depth=3
	v_cmp_ge_i32_e64 s0, v8, v10
	s_and_saveexec_b32 s21, s0
	s_xor_b32 s0, exec_lo, s21
; %bb.12:                               ;   in Loop: Header=BB6_10 Depth=3
	v_add_nc_u32_e32 v14, 1, v14
; %bb.13:                               ;   in Loop: Header=BB6_10 Depth=3
	s_andn2_saveexec_b32 s0, s0
; %bb.14:                               ;   in Loop: Header=BB6_10 Depth=3
	v_add_nc_u32_e32 v12, 1, v12
; %bb.15:                               ;   in Loop: Header=BB6_10 Depth=3
	s_or_b32 exec_lo, exec_lo, s0
.LBB6_16:                               ;   in Loop: Header=BB6_10 Depth=3
	s_andn2_saveexec_b32 s0, s1
	s_cbranch_execz .LBB6_9
; %bb.17:                               ;   in Loop: Header=BB6_10 Depth=3
	v_add_f32_e32 v16, 1.0, v16
	v_add_nc_u32_e32 v12, 1, v12
	v_add_nc_u32_e32 v14, 1, v14
	s_branch .LBB6_9
.LBB6_18:                               ;   in Loop: Header=BB6_6 Depth=2
	s_or_b32 exec_lo, exec_lo, s20
.LBB6_19:                               ;   in Loop: Header=BB6_6 Depth=2
	s_or_b32 exec_lo, exec_lo, s19
	v_cmp_neq_f32_e64 s0, 0, v16
	s_and_b32 exec_lo, exec_lo, s0
	s_cbranch_execz .LBB6_5
; %bb.20:                               ;   in Loop: Header=BB6_6 Depth=2
	v_add_co_u32 v6, s0, s14, v6
	v_add_co_ci_u32_e64 v7, null, s15, v7, s0
	s_mov_b32 s1, 0
	global_load_dword v9, v[6:7], off
.LBB6_21:                               ;   Parent Loop BB6_3 Depth=1
                                        ;     Parent Loop BB6_6 Depth=2
                                        ; =>    This Inner Loop Header: Depth=3
	s_waitcnt vmcnt(0)
	v_add_f32_e32 v8, v9, v16
	global_atomic_cmpswap v8, v[6:7], v[8:9], off glc
	s_waitcnt vmcnt(0)
	v_cmp_eq_u32_e64 s0, v8, v9
	v_mov_b32_e32 v9, v8
	s_or_b32 s1, s0, s1
	s_andn2_b32 exec_lo, exec_lo, s1
	s_cbranch_execnz .LBB6_21
	s_branch .LBB6_5
.LBB6_22:
	s_endpgm
	.section	.rodata,"a",@progbits
	.p2align	6, 0x0
	.amdhsa_kernel _Z14jaccard_is_optILb0EfEviiPKiS1_PKT0_S4_PS2_S5_
		.amdhsa_group_segment_fixed_size 0
		.amdhsa_private_segment_fixed_size 0
		.amdhsa_kernarg_size 312
		.amdhsa_user_sgpr_count 6
		.amdhsa_user_sgpr_private_segment_buffer 1
		.amdhsa_user_sgpr_dispatch_ptr 0
		.amdhsa_user_sgpr_queue_ptr 0
		.amdhsa_user_sgpr_kernarg_segment_ptr 1
		.amdhsa_user_sgpr_dispatch_id 0
		.amdhsa_user_sgpr_flat_scratch_init 0
		.amdhsa_user_sgpr_private_segment_size 0
		.amdhsa_wavefront_size32 1
		.amdhsa_uses_dynamic_stack 0
		.amdhsa_system_sgpr_private_segment_wavefront_offset 0
		.amdhsa_system_sgpr_workgroup_id_x 1
		.amdhsa_system_sgpr_workgroup_id_y 1
		.amdhsa_system_sgpr_workgroup_id_z 1
		.amdhsa_system_sgpr_workgroup_info 0
		.amdhsa_system_vgpr_workitem_id 2
		.amdhsa_next_free_vgpr 21
		.amdhsa_next_free_sgpr 22
		.amdhsa_reserve_vcc 1
		.amdhsa_reserve_flat_scratch 0
		.amdhsa_float_round_mode_32 0
		.amdhsa_float_round_mode_16_64 0
		.amdhsa_float_denorm_mode_32 3
		.amdhsa_float_denorm_mode_16_64 3
		.amdhsa_dx10_clamp 1
		.amdhsa_ieee_mode 1
		.amdhsa_fp16_overflow 0
		.amdhsa_workgroup_processor_mode 1
		.amdhsa_memory_ordered 1
		.amdhsa_forward_progress 1
		.amdhsa_shared_vgpr_count 0
		.amdhsa_exception_fp_ieee_invalid_op 0
		.amdhsa_exception_fp_denorm_src 0
		.amdhsa_exception_fp_ieee_div_zero 0
		.amdhsa_exception_fp_ieee_overflow 0
		.amdhsa_exception_fp_ieee_underflow 0
		.amdhsa_exception_fp_ieee_inexact 0
		.amdhsa_exception_int_div_zero 0
	.end_amdhsa_kernel
	.section	.text._Z14jaccard_is_optILb0EfEviiPKiS1_PKT0_S4_PS2_S5_,"axG",@progbits,_Z14jaccard_is_optILb0EfEviiPKiS1_PKT0_S4_PS2_S5_,comdat
.Lfunc_end6:
	.size	_Z14jaccard_is_optILb0EfEviiPKiS1_PKT0_S4_PS2_S5_, .Lfunc_end6-_Z14jaccard_is_optILb0EfEviiPKiS1_PKT0_S4_PS2_S5_
                                        ; -- End function
	.set _Z14jaccard_is_optILb0EfEviiPKiS1_PKT0_S4_PS2_S5_.num_vgpr, 21
	.set _Z14jaccard_is_optILb0EfEviiPKiS1_PKT0_S4_PS2_S5_.num_agpr, 0
	.set _Z14jaccard_is_optILb0EfEviiPKiS1_PKT0_S4_PS2_S5_.numbered_sgpr, 22
	.set _Z14jaccard_is_optILb0EfEviiPKiS1_PKT0_S4_PS2_S5_.num_named_barrier, 0
	.set _Z14jaccard_is_optILb0EfEviiPKiS1_PKT0_S4_PS2_S5_.private_seg_size, 0
	.set _Z14jaccard_is_optILb0EfEviiPKiS1_PKT0_S4_PS2_S5_.uses_vcc, 1
	.set _Z14jaccard_is_optILb0EfEviiPKiS1_PKT0_S4_PS2_S5_.uses_flat_scratch, 0
	.set _Z14jaccard_is_optILb0EfEviiPKiS1_PKT0_S4_PS2_S5_.has_dyn_sized_stack, 0
	.set _Z14jaccard_is_optILb0EfEviiPKiS1_PKT0_S4_PS2_S5_.has_recursion, 0
	.set _Z14jaccard_is_optILb0EfEviiPKiS1_PKT0_S4_PS2_S5_.has_indirect_call, 0
	.section	.AMDGPU.csdata,"",@progbits
; Kernel info:
; codeLenInByte = 908
; TotalNumSgprs: 24
; NumVgprs: 21
; ScratchSize: 0
; MemoryBound: 0
; FloatMode: 240
; IeeeMode: 1
; LDSByteSize: 0 bytes/workgroup (compile time only)
; SGPRBlocks: 0
; VGPRBlocks: 2
; NumSGPRsForWavesPerEU: 24
; NumVGPRsForWavesPerEU: 21
; Occupancy: 16
; WaveLimiterHint : 1
; COMPUTE_PGM_RSRC2:SCRATCH_EN: 0
; COMPUTE_PGM_RSRC2:USER_SGPR: 6
; COMPUTE_PGM_RSRC2:TRAP_HANDLER: 0
; COMPUTE_PGM_RSRC2:TGID_X_EN: 1
; COMPUTE_PGM_RSRC2:TGID_Y_EN: 1
; COMPUTE_PGM_RSRC2:TGID_Z_EN: 1
; COMPUTE_PGM_RSRC2:TIDIG_COMP_CNT: 2
	.section	.text._Z10jaccard_jwILb0EfEviPKT0_S0_S2_S2_PS0_,"axG",@progbits,_Z10jaccard_jwILb0EfEviPKT0_S0_S2_S2_PS0_,comdat
	.protected	_Z10jaccard_jwILb0EfEviPKT0_S0_S2_S2_PS0_ ; -- Begin function _Z10jaccard_jwILb0EfEviPKT0_S0_S2_S2_PS0_
	.globl	_Z10jaccard_jwILb0EfEviPKT0_S0_S2_S2_PS0_
	.p2align	8
	.type	_Z10jaccard_jwILb0EfEviPKT0_S0_S2_S2_PS0_,@function
_Z10jaccard_jwILb0EfEviPKT0_S0_S2_S2_PS0_: ; @_Z10jaccard_jwILb0EfEviPKT0_S0_S2_S2_PS0_
; %bb.0:
	s_clause 0x1
	s_load_dword s2, s[4:5], 0x3c
	s_load_dword s12, s[4:5], 0x0
	s_add_u32 s0, s4, 48
	s_addc_u32 s1, s5, 0
	s_waitcnt lgkmcnt(0)
	s_and_b32 s13, s2, 0xffff
	s_mov_b32 s2, exec_lo
	v_mad_u64_u32 v[0:1], null, s6, s13, v[0:1]
	v_cmpx_gt_i32_e64 s12, v0
	s_cbranch_execz .LBB7_3
; %bb.1:
	s_load_dword s0, s[0:1], 0x0
	s_clause 0x3
	s_load_dwordx4 s[8:11], s[4:5], 0x18
	s_load_dwordx2 s[2:3], s[4:5], 0x28
	s_load_dwordx2 s[6:7], s[4:5], 0x8
	s_load_dword s1, s[4:5], 0x10
	s_mov_b32 s5, 0
	s_waitcnt lgkmcnt(0)
	s_mul_i32 s4, s0, s13
.LBB7_2:                                ; =>This Inner Loop Header: Depth=1
	v_ashrrev_i32_e32 v1, 31, v0
	v_lshlrev_b64 v[1:2], 2, v[0:1]
	v_add_nc_u32_e32 v0, s4, v0
	v_add_co_u32 v3, vcc_lo, s8, v1
	v_add_co_ci_u32_e64 v4, null, s9, v2, vcc_lo
	v_add_co_u32 v5, vcc_lo, s10, v1
	v_add_co_ci_u32_e64 v6, null, s11, v2, vcc_lo
	global_load_dword v7, v[3:4], off
	global_load_dword v5, v[5:6], off
	v_add_co_u32 v3, vcc_lo, s6, v1
	v_add_co_ci_u32_e64 v4, null, s7, v2, vcc_lo
	v_add_co_u32 v1, s0, s2, v1
	v_add_co_ci_u32_e64 v2, null, s3, v2, s0
	global_load_dword v3, v[3:4], off
	s_waitcnt vmcnt(1)
	v_sub_f32_e32 v4, v5, v7
	v_div_scale_f32 v5, null, v4, v4, v7
	v_div_scale_f32 v9, vcc_lo, v7, v4, v7
	s_waitcnt vmcnt(0)
	v_mul_f32_e32 v3, s1, v3
	v_rcp_f32_e32 v6, v5
	v_fma_f32 v8, -v5, v6, 1.0
	v_fmac_f32_e32 v6, v8, v6
	v_mul_f32_e32 v8, v9, v6
	v_fma_f32 v10, -v5, v8, v9
	v_fmac_f32_e32 v8, v10, v6
	v_fma_f32 v5, -v5, v8, v9
	v_div_fmas_f32 v5, v5, v6, v8
	v_cmp_le_i32_e32 vcc_lo, s12, v0
	v_div_fixup_f32 v4, v5, v4, v7
	s_or_b32 s5, vcc_lo, s5
	v_mul_f32_e32 v3, v3, v4
	global_store_dword v[1:2], v3, off
	s_andn2_b32 exec_lo, exec_lo, s5
	s_cbranch_execnz .LBB7_2
.LBB7_3:
	s_endpgm
	.section	.rodata,"a",@progbits
	.p2align	6, 0x0
	.amdhsa_kernel _Z10jaccard_jwILb0EfEviPKT0_S0_S2_S2_PS0_
		.amdhsa_group_segment_fixed_size 0
		.amdhsa_private_segment_fixed_size 0
		.amdhsa_kernarg_size 304
		.amdhsa_user_sgpr_count 6
		.amdhsa_user_sgpr_private_segment_buffer 1
		.amdhsa_user_sgpr_dispatch_ptr 0
		.amdhsa_user_sgpr_queue_ptr 0
		.amdhsa_user_sgpr_kernarg_segment_ptr 1
		.amdhsa_user_sgpr_dispatch_id 0
		.amdhsa_user_sgpr_flat_scratch_init 0
		.amdhsa_user_sgpr_private_segment_size 0
		.amdhsa_wavefront_size32 1
		.amdhsa_uses_dynamic_stack 0
		.amdhsa_system_sgpr_private_segment_wavefront_offset 0
		.amdhsa_system_sgpr_workgroup_id_x 1
		.amdhsa_system_sgpr_workgroup_id_y 0
		.amdhsa_system_sgpr_workgroup_id_z 0
		.amdhsa_system_sgpr_workgroup_info 0
		.amdhsa_system_vgpr_workitem_id 0
		.amdhsa_next_free_vgpr 11
		.amdhsa_next_free_sgpr 14
		.amdhsa_reserve_vcc 1
		.amdhsa_reserve_flat_scratch 0
		.amdhsa_float_round_mode_32 0
		.amdhsa_float_round_mode_16_64 0
		.amdhsa_float_denorm_mode_32 3
		.amdhsa_float_denorm_mode_16_64 3
		.amdhsa_dx10_clamp 1
		.amdhsa_ieee_mode 1
		.amdhsa_fp16_overflow 0
		.amdhsa_workgroup_processor_mode 1
		.amdhsa_memory_ordered 1
		.amdhsa_forward_progress 1
		.amdhsa_shared_vgpr_count 0
		.amdhsa_exception_fp_ieee_invalid_op 0
		.amdhsa_exception_fp_denorm_src 0
		.amdhsa_exception_fp_ieee_div_zero 0
		.amdhsa_exception_fp_ieee_overflow 0
		.amdhsa_exception_fp_ieee_underflow 0
		.amdhsa_exception_fp_ieee_inexact 0
		.amdhsa_exception_int_div_zero 0
	.end_amdhsa_kernel
	.section	.text._Z10jaccard_jwILb0EfEviPKT0_S0_S2_S2_PS0_,"axG",@progbits,_Z10jaccard_jwILb0EfEviPKT0_S0_S2_S2_PS0_,comdat
.Lfunc_end7:
	.size	_Z10jaccard_jwILb0EfEviPKT0_S0_S2_S2_PS0_, .Lfunc_end7-_Z10jaccard_jwILb0EfEviPKT0_S0_S2_S2_PS0_
                                        ; -- End function
	.set _Z10jaccard_jwILb0EfEviPKT0_S0_S2_S2_PS0_.num_vgpr, 11
	.set _Z10jaccard_jwILb0EfEviPKT0_S0_S2_S2_PS0_.num_agpr, 0
	.set _Z10jaccard_jwILb0EfEviPKT0_S0_S2_S2_PS0_.numbered_sgpr, 14
	.set _Z10jaccard_jwILb0EfEviPKT0_S0_S2_S2_PS0_.num_named_barrier, 0
	.set _Z10jaccard_jwILb0EfEviPKT0_S0_S2_S2_PS0_.private_seg_size, 0
	.set _Z10jaccard_jwILb0EfEviPKT0_S0_S2_S2_PS0_.uses_vcc, 1
	.set _Z10jaccard_jwILb0EfEviPKT0_S0_S2_S2_PS0_.uses_flat_scratch, 0
	.set _Z10jaccard_jwILb0EfEviPKT0_S0_S2_S2_PS0_.has_dyn_sized_stack, 0
	.set _Z10jaccard_jwILb0EfEviPKT0_S0_S2_S2_PS0_.has_recursion, 0
	.set _Z10jaccard_jwILb0EfEviPKT0_S0_S2_S2_PS0_.has_indirect_call, 0
	.section	.AMDGPU.csdata,"",@progbits
; Kernel info:
; codeLenInByte = 344
; TotalNumSgprs: 16
; NumVgprs: 11
; ScratchSize: 0
; MemoryBound: 0
; FloatMode: 240
; IeeeMode: 1
; LDSByteSize: 0 bytes/workgroup (compile time only)
; SGPRBlocks: 0
; VGPRBlocks: 1
; NumSGPRsForWavesPerEU: 16
; NumVGPRsForWavesPerEU: 11
; Occupancy: 16
; WaveLimiterHint : 0
; COMPUTE_PGM_RSRC2:SCRATCH_EN: 0
; COMPUTE_PGM_RSRC2:USER_SGPR: 6
; COMPUTE_PGM_RSRC2:TRAP_HANDLER: 0
; COMPUTE_PGM_RSRC2:TGID_X_EN: 1
; COMPUTE_PGM_RSRC2:TGID_Y_EN: 0
; COMPUTE_PGM_RSRC2:TGID_Z_EN: 0
; COMPUTE_PGM_RSRC2:TIDIG_COMP_CNT: 0
	.section	.AMDGPU.gpr_maximums,"",@progbits
	.set amdgpu.max_num_vgpr, 0
	.set amdgpu.max_num_agpr, 0
	.set amdgpu.max_num_sgpr, 0
	.section	.AMDGPU.csdata,"",@progbits
	.type	__hip_cuid_24a95a7a6ddb9927,@object ; @__hip_cuid_24a95a7a6ddb9927
	.section	.bss,"aw",@nobits
	.globl	__hip_cuid_24a95a7a6ddb9927
__hip_cuid_24a95a7a6ddb9927:
	.byte	0                               ; 0x0
	.size	__hip_cuid_24a95a7a6ddb9927, 1

	.ident	"AMD clang version 22.0.0git (https://github.com/RadeonOpenCompute/llvm-project roc-7.2.4 26084 f58b06dce1f9c15707c5f808fd002e18c2accf7e)"
	.section	".note.GNU-stack","",@progbits
	.addrsig
	.addrsig_sym __hip_cuid_24a95a7a6ddb9927
	.amdgpu_metadata
---
amdhsa.kernels:
  - .args:
      - .offset:         0
        .size:           4
        .value_kind:     by_value
      - .address_space:  global
        .offset:         8
        .size:           8
        .value_kind:     global_buffer
      - .offset:         16
        .size:           4
        .value_kind:     by_value
      - .offset:         24
        .size:           4
        .value_kind:     hidden_block_count_x
      - .offset:         28
        .size:           4
        .value_kind:     hidden_block_count_y
      - .offset:         32
        .size:           4
        .value_kind:     hidden_block_count_z
      - .offset:         36
        .size:           2
        .value_kind:     hidden_group_size_x
      - .offset:         38
        .size:           2
        .value_kind:     hidden_group_size_y
      - .offset:         40
        .size:           2
        .value_kind:     hidden_group_size_z
      - .offset:         42
        .size:           2
        .value_kind:     hidden_remainder_x
      - .offset:         44
        .size:           2
        .value_kind:     hidden_remainder_y
      - .offset:         46
        .size:           2
        .value_kind:     hidden_remainder_z
      - .offset:         64
        .size:           8
        .value_kind:     hidden_global_offset_x
      - .offset:         72
        .size:           8
        .value_kind:     hidden_global_offset_y
      - .offset:         80
        .size:           8
        .value_kind:     hidden_global_offset_z
      - .offset:         88
        .size:           2
        .value_kind:     hidden_grid_dims
    .group_segment_fixed_size: 0
    .kernarg_segment_align: 8
    .kernarg_segment_size: 280
    .language:       OpenCL C
    .language_version:
      - 2
      - 0
    .max_flat_workgroup_size: 1024
    .name:           _Z4fillILb1EfEviPT0_S0_
    .private_segment_fixed_size: 0
    .sgpr_count:     11
    .sgpr_spill_count: 0
    .symbol:         _Z4fillILb1EfEviPT0_S0_.kd
    .uniform_work_group_size: 1
    .uses_dynamic_stack: false
    .vgpr_count:     10
    .vgpr_spill_count: 0
    .wavefront_size: 32
    .workgroup_processor_mode: 1
  - .args:
      - .offset:         0
        .size:           4
        .value_kind:     by_value
      - .address_space:  global
        .offset:         8
        .size:           8
        .value_kind:     global_buffer
      - .offset:         16
        .size:           4
        .value_kind:     by_value
      - .offset:         24
        .size:           4
        .value_kind:     hidden_block_count_x
      - .offset:         28
        .size:           4
        .value_kind:     hidden_block_count_y
      - .offset:         32
        .size:           4
        .value_kind:     hidden_block_count_z
      - .offset:         36
        .size:           2
        .value_kind:     hidden_group_size_x
      - .offset:         38
        .size:           2
        .value_kind:     hidden_group_size_y
      - .offset:         40
        .size:           2
        .value_kind:     hidden_group_size_z
      - .offset:         42
        .size:           2
        .value_kind:     hidden_remainder_x
      - .offset:         44
        .size:           2
        .value_kind:     hidden_remainder_y
      - .offset:         46
        .size:           2
        .value_kind:     hidden_remainder_z
      - .offset:         64
        .size:           8
        .value_kind:     hidden_global_offset_x
      - .offset:         72
        .size:           8
        .value_kind:     hidden_global_offset_y
      - .offset:         80
        .size:           8
        .value_kind:     hidden_global_offset_z
      - .offset:         88
        .size:           2
        .value_kind:     hidden_grid_dims
    .group_segment_fixed_size: 0
    .kernarg_segment_align: 8
    .kernarg_segment_size: 280
    .language:       OpenCL C
    .language_version:
      - 2
      - 0
    .max_flat_workgroup_size: 1024
    .name:           _Z4fillILb0EfEviPT0_S0_
    .private_segment_fixed_size: 0
    .sgpr_count:     11
    .sgpr_spill_count: 0
    .symbol:         _Z4fillILb0EfEviPT0_S0_.kd
    .uniform_work_group_size: 1
    .uses_dynamic_stack: false
    .vgpr_count:     5
    .vgpr_spill_count: 0
    .wavefront_size: 32
    .workgroup_processor_mode: 1
  - .args:
      - .offset:         0
        .size:           4
        .value_kind:     by_value
      - .actual_access:  read_only
        .address_space:  global
        .offset:         8
        .size:           8
        .value_kind:     global_buffer
      - .actual_access:  read_only
        .address_space:  global
        .offset:         16
        .size:           8
        .value_kind:     global_buffer
      - .actual_access:  read_only
        .address_space:  global
        .offset:         24
        .size:           8
        .value_kind:     global_buffer
      - .actual_access:  write_only
        .address_space:  global
        .offset:         32
        .size:           8
        .value_kind:     global_buffer
      - .offset:         40
        .size:           4
        .value_kind:     hidden_block_count_x
      - .offset:         44
        .size:           4
        .value_kind:     hidden_block_count_y
      - .offset:         48
        .size:           4
        .value_kind:     hidden_block_count_z
      - .offset:         52
        .size:           2
        .value_kind:     hidden_group_size_x
      - .offset:         54
        .size:           2
        .value_kind:     hidden_group_size_y
      - .offset:         56
        .size:           2
        .value_kind:     hidden_group_size_z
      - .offset:         58
        .size:           2
        .value_kind:     hidden_remainder_x
      - .offset:         60
        .size:           2
        .value_kind:     hidden_remainder_y
      - .offset:         62
        .size:           2
        .value_kind:     hidden_remainder_z
      - .offset:         80
        .size:           8
        .value_kind:     hidden_global_offset_x
      - .offset:         88
        .size:           8
        .value_kind:     hidden_global_offset_y
      - .offset:         96
        .size:           8
        .value_kind:     hidden_global_offset_z
      - .offset:         104
        .size:           2
        .value_kind:     hidden_grid_dims
    .group_segment_fixed_size: 0
    .kernarg_segment_align: 8
    .kernarg_segment_size: 296
    .language:       OpenCL C
    .language_version:
      - 2
      - 0
    .max_flat_workgroup_size: 1024
    .name:           _Z15jaccard_row_sumILb1EfEviPKiS1_PKT0_PS2_
    .private_segment_fixed_size: 0
    .sgpr_count:     20
    .sgpr_spill_count: 0
    .symbol:         _Z15jaccard_row_sumILb1EfEviPKiS1_PKT0_PS2_.kd
    .uniform_work_group_size: 1
    .uses_dynamic_stack: false
    .vgpr_count:     17
    .vgpr_spill_count: 0
    .wavefront_size: 32
    .workgroup_processor_mode: 1
  - .args:
      - .offset:         0
        .size:           4
        .value_kind:     by_value
      - .offset:         4
        .size:           4
        .value_kind:     by_value
      - .actual_access:  read_only
        .address_space:  global
        .offset:         8
        .size:           8
        .value_kind:     global_buffer
      - .actual_access:  read_only
        .address_space:  global
        .offset:         16
        .size:           8
        .value_kind:     global_buffer
      - .actual_access:  read_only
        .address_space:  global
        .offset:         24
        .size:           8
        .value_kind:     global_buffer
      - .actual_access:  read_only
        .address_space:  global
        .offset:         32
        .size:           8
        .value_kind:     global_buffer
      - .address_space:  global
        .offset:         40
        .size:           8
        .value_kind:     global_buffer
      - .actual_access:  write_only
        .address_space:  global
        .offset:         48
        .size:           8
        .value_kind:     global_buffer
      - .offset:         56
        .size:           4
        .value_kind:     hidden_block_count_x
      - .offset:         60
        .size:           4
        .value_kind:     hidden_block_count_y
      - .offset:         64
        .size:           4
        .value_kind:     hidden_block_count_z
      - .offset:         68
        .size:           2
        .value_kind:     hidden_group_size_x
      - .offset:         70
        .size:           2
        .value_kind:     hidden_group_size_y
      - .offset:         72
        .size:           2
        .value_kind:     hidden_group_size_z
      - .offset:         74
        .size:           2
        .value_kind:     hidden_remainder_x
      - .offset:         76
        .size:           2
        .value_kind:     hidden_remainder_y
      - .offset:         78
        .size:           2
        .value_kind:     hidden_remainder_z
      - .offset:         96
        .size:           8
        .value_kind:     hidden_global_offset_x
      - .offset:         104
        .size:           8
        .value_kind:     hidden_global_offset_y
      - .offset:         112
        .size:           8
        .value_kind:     hidden_global_offset_z
      - .offset:         120
        .size:           2
        .value_kind:     hidden_grid_dims
    .group_segment_fixed_size: 0
    .kernarg_segment_align: 8
    .kernarg_segment_size: 312
    .language:       OpenCL C
    .language_version:
      - 2
      - 0
    .max_flat_workgroup_size: 1024
    .name:           _Z14jaccard_is_optILb1EfEviiPKiS1_PKT0_S4_PS2_S5_
    .private_segment_fixed_size: 0
    .sgpr_count:     26
    .sgpr_spill_count: 0
    .symbol:         _Z14jaccard_is_optILb1EfEviiPKiS1_PKT0_S4_PS2_S5_.kd
    .uniform_work_group_size: 1
    .uses_dynamic_stack: false
    .vgpr_count:     22
    .vgpr_spill_count: 0
    .wavefront_size: 32
    .workgroup_processor_mode: 1
  - .args:
      - .offset:         0
        .size:           4
        .value_kind:     by_value
      - .actual_access:  read_only
        .address_space:  global
        .offset:         8
        .size:           8
        .value_kind:     global_buffer
      - .offset:         16
        .size:           4
        .value_kind:     by_value
      - .actual_access:  read_only
        .address_space:  global
        .offset:         24
        .size:           8
        .value_kind:     global_buffer
      - .actual_access:  read_only
        .address_space:  global
        .offset:         32
        .size:           8
        .value_kind:     global_buffer
      - .actual_access:  write_only
        .address_space:  global
        .offset:         40
        .size:           8
        .value_kind:     global_buffer
      - .offset:         48
        .size:           4
        .value_kind:     hidden_block_count_x
      - .offset:         52
        .size:           4
        .value_kind:     hidden_block_count_y
      - .offset:         56
        .size:           4
        .value_kind:     hidden_block_count_z
      - .offset:         60
        .size:           2
        .value_kind:     hidden_group_size_x
      - .offset:         62
        .size:           2
        .value_kind:     hidden_group_size_y
      - .offset:         64
        .size:           2
        .value_kind:     hidden_group_size_z
      - .offset:         66
        .size:           2
        .value_kind:     hidden_remainder_x
      - .offset:         68
        .size:           2
        .value_kind:     hidden_remainder_y
      - .offset:         70
        .size:           2
        .value_kind:     hidden_remainder_z
      - .offset:         88
        .size:           8
        .value_kind:     hidden_global_offset_x
      - .offset:         96
        .size:           8
        .value_kind:     hidden_global_offset_y
      - .offset:         104
        .size:           8
        .value_kind:     hidden_global_offset_z
      - .offset:         112
        .size:           2
        .value_kind:     hidden_grid_dims
    .group_segment_fixed_size: 0
    .kernarg_segment_align: 8
    .kernarg_segment_size: 304
    .language:       OpenCL C
    .language_version:
      - 2
      - 0
    .max_flat_workgroup_size: 1024
    .name:           _Z10jaccard_jwILb1EfEviPKT0_S0_S2_S2_PS0_
    .private_segment_fixed_size: 0
    .sgpr_count:     16
    .sgpr_spill_count: 0
    .symbol:         _Z10jaccard_jwILb1EfEviPKT0_S0_S2_S2_PS0_.kd
    .uniform_work_group_size: 1
    .uses_dynamic_stack: false
    .vgpr_count:     11
    .vgpr_spill_count: 0
    .wavefront_size: 32
    .workgroup_processor_mode: 1
  - .args:
      - .offset:         0
        .size:           4
        .value_kind:     by_value
      - .actual_access:  read_only
        .address_space:  global
        .offset:         8
        .size:           8
        .value_kind:     global_buffer
      - .actual_access:  read_only
        .address_space:  global
        .offset:         16
        .size:           8
        .value_kind:     global_buffer
      - .actual_access:  read_only
        .address_space:  global
        .offset:         24
        .size:           8
        .value_kind:     global_buffer
      - .actual_access:  write_only
        .address_space:  global
        .offset:         32
        .size:           8
        .value_kind:     global_buffer
      - .offset:         40
        .size:           4
        .value_kind:     hidden_block_count_x
      - .offset:         44
        .size:           4
        .value_kind:     hidden_block_count_y
      - .offset:         48
        .size:           4
        .value_kind:     hidden_block_count_z
      - .offset:         52
        .size:           2
        .value_kind:     hidden_group_size_x
      - .offset:         54
        .size:           2
        .value_kind:     hidden_group_size_y
      - .offset:         56
        .size:           2
        .value_kind:     hidden_group_size_z
      - .offset:         58
        .size:           2
        .value_kind:     hidden_remainder_x
      - .offset:         60
        .size:           2
        .value_kind:     hidden_remainder_y
      - .offset:         62
        .size:           2
        .value_kind:     hidden_remainder_z
      - .offset:         80
        .size:           8
        .value_kind:     hidden_global_offset_x
      - .offset:         88
        .size:           8
        .value_kind:     hidden_global_offset_y
      - .offset:         96
        .size:           8
        .value_kind:     hidden_global_offset_z
      - .offset:         104
        .size:           2
        .value_kind:     hidden_grid_dims
    .group_segment_fixed_size: 0
    .kernarg_segment_align: 8
    .kernarg_segment_size: 296
    .language:       OpenCL C
    .language_version:
      - 2
      - 0
    .max_flat_workgroup_size: 1024
    .name:           _Z15jaccard_row_sumILb0EfEviPKiS1_PKT0_PS2_
    .private_segment_fixed_size: 0
    .sgpr_count:     11
    .sgpr_spill_count: 0
    .symbol:         _Z15jaccard_row_sumILb0EfEviPKiS1_PKT0_PS2_.kd
    .uniform_work_group_size: 1
    .uses_dynamic_stack: false
    .vgpr_count:     5
    .vgpr_spill_count: 0
    .wavefront_size: 32
    .workgroup_processor_mode: 1
  - .args:
      - .offset:         0
        .size:           4
        .value_kind:     by_value
      - .offset:         4
        .size:           4
        .value_kind:     by_value
      - .actual_access:  read_only
        .address_space:  global
        .offset:         8
        .size:           8
        .value_kind:     global_buffer
      - .actual_access:  read_only
        .address_space:  global
        .offset:         16
        .size:           8
        .value_kind:     global_buffer
      - .actual_access:  read_only
        .address_space:  global
        .offset:         24
        .size:           8
        .value_kind:     global_buffer
      - .actual_access:  read_only
        .address_space:  global
        .offset:         32
        .size:           8
        .value_kind:     global_buffer
      - .address_space:  global
        .offset:         40
        .size:           8
        .value_kind:     global_buffer
      - .actual_access:  write_only
        .address_space:  global
        .offset:         48
        .size:           8
        .value_kind:     global_buffer
      - .offset:         56
        .size:           4
        .value_kind:     hidden_block_count_x
      - .offset:         60
        .size:           4
        .value_kind:     hidden_block_count_y
      - .offset:         64
        .size:           4
        .value_kind:     hidden_block_count_z
      - .offset:         68
        .size:           2
        .value_kind:     hidden_group_size_x
      - .offset:         70
        .size:           2
        .value_kind:     hidden_group_size_y
      - .offset:         72
        .size:           2
        .value_kind:     hidden_group_size_z
      - .offset:         74
        .size:           2
        .value_kind:     hidden_remainder_x
      - .offset:         76
        .size:           2
        .value_kind:     hidden_remainder_y
      - .offset:         78
        .size:           2
        .value_kind:     hidden_remainder_z
      - .offset:         96
        .size:           8
        .value_kind:     hidden_global_offset_x
      - .offset:         104
        .size:           8
        .value_kind:     hidden_global_offset_y
      - .offset:         112
        .size:           8
        .value_kind:     hidden_global_offset_z
      - .offset:         120
        .size:           2
        .value_kind:     hidden_grid_dims
    .group_segment_fixed_size: 0
    .kernarg_segment_align: 8
    .kernarg_segment_size: 312
    .language:       OpenCL C
    .language_version:
      - 2
      - 0
    .max_flat_workgroup_size: 1024
    .name:           _Z14jaccard_is_optILb0EfEviiPKiS1_PKT0_S4_PS2_S5_
    .private_segment_fixed_size: 0
    .sgpr_count:     24
    .sgpr_spill_count: 0
    .symbol:         _Z14jaccard_is_optILb0EfEviiPKiS1_PKT0_S4_PS2_S5_.kd
    .uniform_work_group_size: 1
    .uses_dynamic_stack: false
    .vgpr_count:     21
    .vgpr_spill_count: 0
    .wavefront_size: 32
    .workgroup_processor_mode: 1
  - .args:
      - .offset:         0
        .size:           4
        .value_kind:     by_value
      - .actual_access:  read_only
        .address_space:  global
        .offset:         8
        .size:           8
        .value_kind:     global_buffer
      - .offset:         16
        .size:           4
        .value_kind:     by_value
      - .actual_access:  read_only
        .address_space:  global
        .offset:         24
        .size:           8
        .value_kind:     global_buffer
      - .actual_access:  read_only
        .address_space:  global
        .offset:         32
        .size:           8
        .value_kind:     global_buffer
      - .actual_access:  write_only
        .address_space:  global
        .offset:         40
        .size:           8
        .value_kind:     global_buffer
      - .offset:         48
        .size:           4
        .value_kind:     hidden_block_count_x
      - .offset:         52
        .size:           4
        .value_kind:     hidden_block_count_y
      - .offset:         56
        .size:           4
        .value_kind:     hidden_block_count_z
      - .offset:         60
        .size:           2
        .value_kind:     hidden_group_size_x
      - .offset:         62
        .size:           2
        .value_kind:     hidden_group_size_y
      - .offset:         64
        .size:           2
        .value_kind:     hidden_group_size_z
      - .offset:         66
        .size:           2
        .value_kind:     hidden_remainder_x
      - .offset:         68
        .size:           2
        .value_kind:     hidden_remainder_y
      - .offset:         70
        .size:           2
        .value_kind:     hidden_remainder_z
      - .offset:         88
        .size:           8
        .value_kind:     hidden_global_offset_x
      - .offset:         96
        .size:           8
        .value_kind:     hidden_global_offset_y
      - .offset:         104
        .size:           8
        .value_kind:     hidden_global_offset_z
      - .offset:         112
        .size:           2
        .value_kind:     hidden_grid_dims
    .group_segment_fixed_size: 0
    .kernarg_segment_align: 8
    .kernarg_segment_size: 304
    .language:       OpenCL C
    .language_version:
      - 2
      - 0
    .max_flat_workgroup_size: 1024
    .name:           _Z10jaccard_jwILb0EfEviPKT0_S0_S2_S2_PS0_
    .private_segment_fixed_size: 0
    .sgpr_count:     16
    .sgpr_spill_count: 0
    .symbol:         _Z10jaccard_jwILb0EfEviPKT0_S0_S2_S2_PS0_.kd
    .uniform_work_group_size: 1
    .uses_dynamic_stack: false
    .vgpr_count:     11
    .vgpr_spill_count: 0
    .wavefront_size: 32
    .workgroup_processor_mode: 1
amdhsa.target:   amdgcn-amd-amdhsa--gfx1030
amdhsa.version:
  - 1
  - 2
...

	.end_amdgpu_metadata
